;; amdgpu-corpus repo=ROCm/rocFFT kind=compiled arch=gfx950 opt=O3
	.text
	.amdgcn_target "amdgcn-amd-amdhsa--gfx950"
	.amdhsa_code_object_version 6
	.protected	fft_rtc_back_len1989_factors_17_13_9_wgs_153_tpt_153_halfLds_sp_ip_CI_sbrr_dirReg ; -- Begin function fft_rtc_back_len1989_factors_17_13_9_wgs_153_tpt_153_halfLds_sp_ip_CI_sbrr_dirReg
	.globl	fft_rtc_back_len1989_factors_17_13_9_wgs_153_tpt_153_halfLds_sp_ip_CI_sbrr_dirReg
	.p2align	8
	.type	fft_rtc_back_len1989_factors_17_13_9_wgs_153_tpt_153_halfLds_sp_ip_CI_sbrr_dirReg,@function
fft_rtc_back_len1989_factors_17_13_9_wgs_153_tpt_153_halfLds_sp_ip_CI_sbrr_dirReg: ; @fft_rtc_back_len1989_factors_17_13_9_wgs_153_tpt_153_halfLds_sp_ip_CI_sbrr_dirReg
; %bb.0:
	s_load_dwordx2 s[12:13], s[0:1], 0x18
	s_load_dwordx4 s[4:7], s[0:1], 0x0
	s_load_dwordx2 s[10:11], s[0:1], 0x50
	v_mul_u32_u24_e32 v1, 0x1ad, v0
	v_add_u32_sdwa v6, s2, v1 dst_sel:DWORD dst_unused:UNUSED_PAD src0_sel:DWORD src1_sel:WORD_1
	s_waitcnt lgkmcnt(0)
	s_load_dwordx2 s[8:9], s[12:13], 0x0
	v_mov_b32_e32 v4, 0
	v_cmp_lt_u64_e64 s[2:3], s[6:7], 2
	v_mov_b32_e32 v7, v4
	s_and_b64 vcc, exec, s[2:3]
	v_mov_b64_e32 v[2:3], 0
	s_cbranch_vccnz .LBB0_8
; %bb.1:
	s_load_dwordx2 s[2:3], s[0:1], 0x10
	s_add_u32 s14, s12, 8
	s_addc_u32 s15, s13, 0
	s_mov_b64 s[16:17], 1
	v_mov_b64_e32 v[2:3], 0
	s_waitcnt lgkmcnt(0)
	s_add_u32 s18, s2, 8
	s_addc_u32 s19, s3, 0
.LBB0_2:                                ; =>This Inner Loop Header: Depth=1
	s_load_dwordx2 s[20:21], s[18:19], 0x0
                                        ; implicit-def: $vgpr8_vgpr9
	s_waitcnt lgkmcnt(0)
	v_or_b32_e32 v5, s21, v7
	v_cmp_ne_u64_e32 vcc, 0, v[4:5]
	s_and_saveexec_b64 s[2:3], vcc
	s_xor_b64 s[22:23], exec, s[2:3]
	s_cbranch_execz .LBB0_4
; %bb.3:                                ;   in Loop: Header=BB0_2 Depth=1
	v_cvt_f32_u32_e32 v1, s20
	v_cvt_f32_u32_e32 v5, s21
	s_sub_u32 s2, 0, s20
	s_subb_u32 s3, 0, s21
	v_fmac_f32_e32 v1, 0x4f800000, v5
	v_rcp_f32_e32 v1, v1
	s_nop 0
	v_mul_f32_e32 v1, 0x5f7ffffc, v1
	v_mul_f32_e32 v5, 0x2f800000, v1
	v_trunc_f32_e32 v5, v5
	v_fmac_f32_e32 v1, 0xcf800000, v5
	v_cvt_u32_f32_e32 v5, v5
	v_cvt_u32_f32_e32 v1, v1
	v_mul_lo_u32 v8, s2, v5
	v_mul_hi_u32 v10, s2, v1
	v_mul_lo_u32 v9, s3, v1
	v_add_u32_e32 v10, v10, v8
	v_mul_lo_u32 v12, s2, v1
	v_add_u32_e32 v13, v10, v9
	v_mul_hi_u32 v8, v1, v12
	v_mul_hi_u32 v11, v1, v13
	v_mul_lo_u32 v10, v1, v13
	v_mov_b32_e32 v9, v4
	v_lshl_add_u64 v[8:9], v[8:9], 0, v[10:11]
	v_mul_hi_u32 v11, v5, v12
	v_mul_lo_u32 v12, v5, v12
	v_add_co_u32_e32 v8, vcc, v8, v12
	v_mul_hi_u32 v10, v5, v13
	s_nop 0
	v_addc_co_u32_e32 v8, vcc, v9, v11, vcc
	v_mov_b32_e32 v9, v4
	s_nop 0
	v_addc_co_u32_e32 v11, vcc, 0, v10, vcc
	v_mul_lo_u32 v10, v5, v13
	v_lshl_add_u64 v[8:9], v[8:9], 0, v[10:11]
	v_add_co_u32_e32 v1, vcc, v1, v8
	v_mul_lo_u32 v10, s2, v1
	s_nop 0
	v_addc_co_u32_e32 v5, vcc, v5, v9, vcc
	v_mul_lo_u32 v8, s2, v5
	v_mul_hi_u32 v9, s2, v1
	v_add_u32_e32 v8, v9, v8
	v_mul_lo_u32 v9, s3, v1
	v_add_u32_e32 v12, v8, v9
	v_mul_hi_u32 v14, v5, v10
	v_mul_lo_u32 v15, v5, v10
	v_mul_hi_u32 v9, v1, v12
	v_mul_lo_u32 v8, v1, v12
	v_mul_hi_u32 v10, v1, v10
	v_mov_b32_e32 v11, v4
	v_lshl_add_u64 v[8:9], v[10:11], 0, v[8:9]
	v_add_co_u32_e32 v8, vcc, v8, v15
	v_mul_hi_u32 v13, v5, v12
	s_nop 0
	v_addc_co_u32_e32 v8, vcc, v9, v14, vcc
	v_mul_lo_u32 v10, v5, v12
	s_nop 0
	v_addc_co_u32_e32 v11, vcc, 0, v13, vcc
	v_mov_b32_e32 v9, v4
	v_lshl_add_u64 v[8:9], v[8:9], 0, v[10:11]
	v_add_co_u32_e32 v1, vcc, v1, v8
	v_mul_hi_u32 v10, v6, v1
	s_nop 0
	v_addc_co_u32_e32 v5, vcc, v5, v9, vcc
	v_mad_u64_u32 v[8:9], s[2:3], v6, v5, 0
	v_mov_b32_e32 v11, v4
	v_lshl_add_u64 v[8:9], v[10:11], 0, v[8:9]
	v_mad_u64_u32 v[12:13], s[2:3], v7, v1, 0
	v_add_co_u32_e32 v1, vcc, v8, v12
	v_mad_u64_u32 v[10:11], s[2:3], v7, v5, 0
	s_nop 0
	v_addc_co_u32_e32 v8, vcc, v9, v13, vcc
	v_mov_b32_e32 v9, v4
	s_nop 0
	v_addc_co_u32_e32 v11, vcc, 0, v11, vcc
	v_lshl_add_u64 v[8:9], v[8:9], 0, v[10:11]
	v_mul_lo_u32 v1, s21, v8
	v_mul_lo_u32 v5, s20, v9
	v_mad_u64_u32 v[10:11], s[2:3], s20, v8, 0
	v_add3_u32 v1, v11, v5, v1
	v_sub_u32_e32 v5, v7, v1
	v_mov_b32_e32 v11, s21
	v_sub_co_u32_e32 v14, vcc, v6, v10
	v_lshl_add_u64 v[12:13], v[8:9], 0, 1
	s_nop 0
	v_subb_co_u32_e64 v5, s[2:3], v5, v11, vcc
	v_subrev_co_u32_e64 v10, s[2:3], s20, v14
	v_subb_co_u32_e32 v1, vcc, v7, v1, vcc
	s_nop 0
	v_subbrev_co_u32_e64 v5, s[2:3], 0, v5, s[2:3]
	v_cmp_le_u32_e64 s[2:3], s21, v5
	v_cmp_le_u32_e32 vcc, s21, v1
	s_nop 0
	v_cndmask_b32_e64 v11, 0, -1, s[2:3]
	v_cmp_le_u32_e64 s[2:3], s20, v10
	s_nop 1
	v_cndmask_b32_e64 v10, 0, -1, s[2:3]
	v_cmp_eq_u32_e64 s[2:3], s21, v5
	s_nop 1
	v_cndmask_b32_e64 v5, v11, v10, s[2:3]
	v_lshl_add_u64 v[10:11], v[8:9], 0, 2
	v_cmp_ne_u32_e64 s[2:3], 0, v5
	s_nop 1
	v_cndmask_b32_e64 v5, v13, v11, s[2:3]
	v_cndmask_b32_e64 v11, 0, -1, vcc
	v_cmp_le_u32_e32 vcc, s20, v14
	s_nop 1
	v_cndmask_b32_e64 v13, 0, -1, vcc
	v_cmp_eq_u32_e32 vcc, s21, v1
	s_nop 1
	v_cndmask_b32_e32 v1, v11, v13, vcc
	v_cmp_ne_u32_e32 vcc, 0, v1
	v_cndmask_b32_e64 v1, v12, v10, s[2:3]
	s_nop 0
	v_cndmask_b32_e32 v9, v9, v5, vcc
	v_cndmask_b32_e32 v8, v8, v1, vcc
.LBB0_4:                                ;   in Loop: Header=BB0_2 Depth=1
	s_andn2_saveexec_b64 s[2:3], s[22:23]
	s_cbranch_execz .LBB0_6
; %bb.5:                                ;   in Loop: Header=BB0_2 Depth=1
	v_cvt_f32_u32_e32 v1, s20
	s_sub_i32 s22, 0, s20
	v_rcp_iflag_f32_e32 v1, v1
	s_nop 0
	v_mul_f32_e32 v1, 0x4f7ffffe, v1
	v_cvt_u32_f32_e32 v1, v1
	v_mul_lo_u32 v5, s22, v1
	v_mul_hi_u32 v5, v1, v5
	v_add_u32_e32 v1, v1, v5
	v_mul_hi_u32 v1, v6, v1
	v_mul_lo_u32 v5, v1, s20
	v_sub_u32_e32 v5, v6, v5
	v_add_u32_e32 v8, 1, v1
	v_subrev_u32_e32 v9, s20, v5
	v_cmp_le_u32_e32 vcc, s20, v5
	s_nop 1
	v_cndmask_b32_e32 v5, v5, v9, vcc
	v_cndmask_b32_e32 v1, v1, v8, vcc
	v_add_u32_e32 v8, 1, v1
	v_cmp_le_u32_e32 vcc, s20, v5
	v_mov_b32_e32 v9, v4
	s_nop 0
	v_cndmask_b32_e32 v8, v1, v8, vcc
.LBB0_6:                                ;   in Loop: Header=BB0_2 Depth=1
	s_or_b64 exec, exec, s[2:3]
	v_mad_u64_u32 v[10:11], s[2:3], v8, s20, 0
	s_load_dwordx2 s[2:3], s[14:15], 0x0
	v_mul_lo_u32 v1, v9, s20
	v_mul_lo_u32 v5, v8, s21
	v_add3_u32 v1, v11, v5, v1
	v_sub_co_u32_e32 v5, vcc, v6, v10
	s_add_u32 s16, s16, 1
	s_nop 0
	v_subb_co_u32_e32 v1, vcc, v7, v1, vcc
	s_addc_u32 s17, s17, 0
	s_waitcnt lgkmcnt(0)
	v_mul_lo_u32 v1, s2, v1
	v_mul_lo_u32 v6, s3, v5
	v_mad_u64_u32 v[2:3], s[2:3], s2, v5, v[2:3]
	s_add_u32 s14, s14, 8
	v_add3_u32 v3, v6, v3, v1
	s_addc_u32 s15, s15, 0
	v_mov_b64_e32 v[6:7], s[6:7]
	s_add_u32 s18, s18, 8
	v_cmp_ge_u64_e32 vcc, s[16:17], v[6:7]
	s_addc_u32 s19, s19, 0
	s_cbranch_vccnz .LBB0_9
; %bb.7:                                ;   in Loop: Header=BB0_2 Depth=1
	v_mov_b64_e32 v[6:7], v[8:9]
	s_branch .LBB0_2
.LBB0_8:
	v_mov_b64_e32 v[8:9], v[6:7]
.LBB0_9:
	s_lshl_b64 s[2:3], s[6:7], 3
	s_add_u32 s2, s12, s2
	s_addc_u32 s3, s13, s3
	s_load_dwordx2 s[6:7], s[2:3], 0x0
	s_load_dwordx2 s[12:13], s[0:1], 0x20
	v_mov_b32_e32 v13, 0
	v_mov_b32_e32 v31, 0
                                        ; implicit-def: $vgpr20
                                        ; implicit-def: $vgpr14
                                        ; implicit-def: $vgpr32
                                        ; implicit-def: $vgpr24
                                        ; implicit-def: $vgpr16
                                        ; implicit-def: $vgpr26
                                        ; implicit-def: $vgpr36
                                        ; implicit-def: $vgpr28
                                        ; implicit-def: $vgpr18
                                        ; implicit-def: $vgpr6
                                        ; implicit-def: $vgpr38
                                        ; implicit-def: $vgpr22
                                        ; implicit-def: $vgpr10
                                        ; implicit-def: $vgpr34
	s_waitcnt lgkmcnt(0)
	v_mad_u64_u32 v[2:3], s[0:1], s6, v8, v[2:3]
	v_mul_lo_u32 v1, s6, v9
	v_mul_lo_u32 v4, s7, v8
	s_mov_b32 s0, 0x1ac5702
	v_add3_u32 v3, v4, v3, v1
	v_mul_hi_u32 v1, v0, s0
	v_mul_u32_u24_e32 v1, 0x99, v1
	v_sub_u32_e32 v112, v0, v1
	s_movk_i32 s0, 0x75
	v_cmp_gt_u64_e32 vcc, s[12:13], v[8:9]
	v_cmp_gt_u32_e64 s[0:1], s0, v112
	s_and_b64 s[6:7], vcc, s[0:1]
	v_lshl_add_u64 v[0:1], v[2:3], 3, s[10:11]
                                        ; implicit-def: $vgpr8
	s_and_saveexec_b64 s[2:3], s[6:7]
	s_cbranch_execz .LBB0_11
; %bb.10:
	v_mad_u64_u32 v[2:3], s[6:7], s8, v112, 0
	v_mov_b32_e32 v4, v3
	v_mad_u64_u32 v[4:5], s[6:7], s9, v112, v[4:5]
	v_add_u32_e32 v7, 0x75, v112
	v_mov_b32_e32 v3, v4
	v_mad_u64_u32 v[4:5], s[6:7], s8, v7, 0
	v_mov_b32_e32 v6, v5
	v_mad_u64_u32 v[6:7], s[6:7], s9, v7, v[6:7]
	v_add_u32_e32 v9, 0xea, v112
	v_mov_b32_e32 v5, v6
	v_mad_u64_u32 v[6:7], s[6:7], s8, v9, 0
	v_mov_b32_e32 v8, v7
	v_mad_u64_u32 v[8:9], s[6:7], s9, v9, v[8:9]
	v_mov_b32_e32 v7, v8
	v_add_u32_e32 v11, 0x15f, v112
	v_lshl_add_u64 v[8:9], v[6:7], 3, v[0:1]
	v_mad_u64_u32 v[6:7], s[6:7], s8, v11, 0
	v_mov_b32_e32 v10, v7
	v_mad_u64_u32 v[10:11], s[6:7], s9, v11, v[10:11]
	v_lshl_add_u64 v[2:3], v[2:3], 3, v[0:1]
	v_lshl_add_u64 v[4:5], v[4:5], 3, v[0:1]
	v_mov_b32_e32 v7, v10
	v_lshl_add_u64 v[10:11], v[6:7], 3, v[0:1]
	global_load_dwordx2 v[14:15], v[2:3], off
	global_load_dwordx2 v[6:7], v[4:5], off
	;; [unrolled: 1-line block ×4, first 2 shown]
	v_add_u32_e32 v5, 0x1d4, v112
	v_mad_u64_u32 v[2:3], s[6:7], s8, v5, 0
	v_mov_b32_e32 v4, v3
	v_mad_u64_u32 v[4:5], s[6:7], s9, v5, v[4:5]
	v_add_u32_e32 v9, 0x249, v112
	v_mov_b32_e32 v3, v4
	v_mad_u64_u32 v[4:5], s[6:7], s8, v9, 0
	v_mov_b32_e32 v8, v5
	v_mad_u64_u32 v[8:9], s[6:7], s9, v9, v[8:9]
	v_add_u32_e32 v11, 0x2be, v112
	v_mov_b32_e32 v5, v8
	v_mad_u64_u32 v[8:9], s[6:7], s8, v11, 0
	v_mov_b32_e32 v10, v9
	v_mad_u64_u32 v[10:11], s[6:7], s9, v11, v[10:11]
	v_lshl_add_u64 v[2:3], v[2:3], 3, v[0:1]
	v_lshl_add_u64 v[4:5], v[4:5], 3, v[0:1]
	v_mov_b32_e32 v9, v10
	v_lshl_add_u64 v[10:11], v[8:9], 3, v[0:1]
	global_load_dwordx2 v[26:27], v[2:3], off
	global_load_dwordx2 v[16:17], v[4:5], off
	;; [unrolled: 1-line block ×3, first 2 shown]
	v_add_u32_e32 v5, 0x333, v112
	v_mad_u64_u32 v[2:3], s[6:7], s8, v5, 0
	v_mov_b32_e32 v4, v3
	v_add_u32_e32 v3, 0x3a8, v112
	v_mad_u64_u32 v[10:11], s[6:7], s8, v3, 0
	v_mov_b32_e32 v12, v11
	v_mad_u64_u32 v[12:13], s[6:7], s9, v3, v[12:13]
	v_mov_b32_e32 v11, v12
	v_add_u32_e32 v3, 0x41d, v112
	v_lshl_add_u64 v[12:13], v[10:11], 3, v[0:1]
	v_mad_u64_u32 v[10:11], s[6:7], s8, v3, 0
	v_mov_b32_e32 v20, v11
	v_mad_u64_u32 v[20:21], s[6:7], s9, v3, v[20:21]
	v_mov_b32_e32 v11, v20
	v_add_u32_e32 v3, 0x492, v112
	v_lshl_add_u64 v[20:21], v[10:11], 3, v[0:1]
	;; [unrolled: 6-line block ×4, first 2 shown]
	global_load_dwordx2 v[34:35], v[12:13], off
	global_load_dwordx2 v[30:31], v[20:21], off
	;; [unrolled: 1-line block ×4, first 2 shown]
	v_mad_u64_u32 v[12:13], s[6:7], s8, v3, 0
	v_mov_b32_e32 v20, v13
	v_mad_u64_u32 v[20:21], s[6:7], s9, v3, v[20:21]
	v_add_u32_e32 v3, 0x5f1, v112
	v_mov_b32_e32 v13, v20
	v_mad_u64_u32 v[20:21], s[6:7], s8, v3, 0
	v_mov_b32_e32 v22, v21
	v_mad_u64_u32 v[22:23], s[6:7], s9, v3, v[22:23]
	v_add_u32_e32 v3, 0x666, v112
	v_mov_b32_e32 v21, v22
	;; [unrolled: 5-line block ×3, first 2 shown]
	v_mad_u64_u32 v[24:25], s[6:7], s8, v3, 0
	v_mov_b32_e32 v28, v25
	v_lshl_add_u64 v[12:13], v[12:13], 3, v[0:1]
	v_mad_u64_u32 v[28:29], s[6:7], s9, v3, v[28:29]
	v_add_u32_e32 v3, 0x750, v112
	v_mov_b32_e32 v25, v28
	global_load_dwordx2 v[28:29], v[12:13], off
	v_mad_u64_u32 v[12:13], s[6:7], s8, v3, 0
	v_lshl_add_u64 v[20:21], v[20:21], 3, v[0:1]
	v_mov_b32_e32 v38, v13
	v_lshl_add_u64 v[22:23], v[22:23], 3, v[0:1]
	global_load_dwordx2 v[36:37], v[20:21], off
	global_load_dwordx2 v[42:43], v[22:23], off
	v_mad_u64_u32 v[20:21], s[6:7], s9, v3, v[38:39]
	v_mad_u64_u32 v[4:5], s[6:7], s9, v5, v[4:5]
	v_mov_b32_e32 v13, v20
	v_lshl_add_u64 v[12:13], v[12:13], 3, v[0:1]
	v_mov_b32_e32 v3, v4
	v_lshl_add_u64 v[24:25], v[24:25], 3, v[0:1]
	global_load_dwordx2 v[38:39], v[12:13], off
	global_load_dwordx2 v[44:45], v[24:25], off
	v_lshl_add_u64 v[2:3], v[2:3], 3, v[0:1]
	global_load_dwordx2 v[22:23], v[2:3], off
	s_waitcnt vmcnt(16)
	v_mov_b32_e32 v13, v15
	s_waitcnt vmcnt(10)
	v_mov_b32_e32 v20, v9
	v_mov_b32_e32 v21, v17
	v_mov_b32_e32 v9, v16
	v_mov_b32_e32 v24, v27
	v_mov_b32_e32 v25, v19
	v_mov_b32_e32 v27, v18
	s_waitcnt vmcnt(8)
	v_mov_b32_e32 v12, v31
	v_mov_b32_e32 v31, v14
	s_waitcnt vmcnt(6)
	v_mov_b32_e32 v14, v33
	s_waitcnt vmcnt(5)
	v_mov_b32_e32 v15, v29
	v_mov_b32_e32 v33, v28
	;; [unrolled: 1-line block ×5, first 2 shown]
	s_waitcnt vmcnt(4)
	v_mov_b32_e32 v16, v37
	s_waitcnt vmcnt(3)
	v_mov_b32_e32 v17, v43
	v_mov_b32_e32 v37, v42
	s_waitcnt vmcnt(2)
	v_mov_b32_e32 v18, v39
	s_waitcnt vmcnt(1)
	v_mov_b32_e32 v19, v45
	v_mov_b32_e32 v39, v44
.LBB0_11:
	s_or_b64 exec, exec, s[2:3]
	s_mov_b32 s40, 0xbf65296c
	v_pk_add_f32 v[52:53], v[28:29], v[18:19] neg_lo:[0,1] neg_hi:[0,1]
	s_mov_b32 s26, 0x3ee437d1
	s_mov_b32 s41, 0xbf2c7751
	;; [unrolled: 1-line block ×3, first 2 shown]
	v_pk_add_f32 v[50:51], v[6:7], v[38:39]
	s_mov_b32 s27, 0x3f3d2fb0
	v_pk_mul_f32 v[66:67], v[52:53], s[40:41] op_sel_hi:[0,1]
	s_mov_b32 s28, 0xbf1a4643
	s_mov_b32 s43, 0xbf7ee86f
	v_pk_add_f32 v[48:49], v[24:25], v[16:17] neg_lo:[0,1] neg_hi:[0,1]
	v_pk_fma_f32 v[2:3], v[50:51], s[26:27], v[66:67] op_sel_hi:[0,1,1] neg_lo:[0,0,1] neg_hi:[0,0,1]
	v_mov_b32_e32 v4, v31
	s_mov_b32 s29, 0x3dbcf732
	v_pk_mul_f32 v[68:69], v[52:53], s[42:43] op_sel:[1,0]
	s_mov_b32 s44, 0x3e3c28d5
	s_mov_b32 s45, s42
	;; [unrolled: 1-line block ×3, first 2 shown]
	v_pk_add_f32 v[46:47], v[26:27], v[36:37]
	v_pk_add_f32 v[2:3], v[4:5], v[2:3] op_sel_hi:[0,1]
	v_pk_fma_f32 v[40:41], v[50:51], s[28:29], v[68:69] op_sel:[1,0,0] neg_lo:[0,0,1] neg_hi:[0,0,1]
	s_mov_b32 s30, 0xbf7ba420
	s_mov_b32 s31, s28
	v_pk_mul_f32 v[72:73], v[48:49], s[44:45] op_sel:[1,0]
	s_mov_b32 s47, 0xbe3c28d5
	s_mov_b32 s48, 0x3f2c7751
	v_pk_add_f32 v[44:45], v[20:21], v[14:15] neg_lo:[0,1] neg_hi:[0,1]
	v_pk_add_f32 v[2:3], v[2:3], v[40:41]
	v_pk_fma_f32 v[40:41], v[46:47], s[30:31], v[72:73] op_sel:[1,0,0] neg_lo:[0,0,1] neg_hi:[0,0,1]
	s_mov_b32 s34, 0xbe8c1d8e
	s_mov_b32 s35, s30
	v_pk_mul_f32 v[74:75], v[48:49], s[46:47] op_sel_hi:[0,1]
	s_mov_b32 s49, 0x3f06c442
	v_pk_add_f32 v[42:43], v[8:9], v[32:33]
	v_pk_add_f32 v[2:3], v[2:3], v[40:41]
	v_pk_fma_f32 v[40:41], v[46:47], s[34:35], v[74:75] op_sel_hi:[0,1,1] neg_lo:[0,0,1] neg_hi:[0,0,1]
	s_mov_b32 s37, 0xbf59a7d5
	s_mov_b32 s36, s27
	v_pk_mul_f32 v[76:77], v[44:45], s[48:49] op_sel:[1,0]
	s_mov_b32 s50, 0xbeb8f4ab
	s_mov_b32 s51, s46
	v_pk_add_f32 v[2:3], v[40:41], v[2:3]
	v_pk_fma_f32 v[40:41], v[42:43], s[36:37], v[76:77] op_sel:[1,0,0] neg_lo:[0,0,1] neg_hi:[0,0,1]
	s_mov_b32 s10, 0x3f6eb680
	s_mov_b32 s11, s34
	v_pk_mul_f32 v[78:79], v[44:45], s[50:51] op_sel_hi:[0,1]
	s_mov_b32 s53, 0x3f65296c
	s_mov_b32 s52, s43
	s_waitcnt vmcnt(0)
	v_pk_add_f32 v[54:55], v[22:23], v[10:11] neg_lo:[0,1] neg_hi:[0,1]
	v_pk_add_f32 v[2:3], v[40:41], v[2:3]
	v_pk_fma_f32 v[40:41], v[42:43], s[10:11], v[78:79] op_sel_hi:[0,1,1] neg_lo:[0,0,1] neg_hi:[0,0,1]
	s_mov_b32 s6, s29
	s_mov_b32 s7, s26
	v_pk_add_f32 v[56:57], v[22:23], v[10:11]
	v_pk_mul_f32 v[80:81], v[54:55], s[52:53] op_sel:[1,0]
	v_pk_add_f32 v[2:3], v[40:41], v[2:3]
	v_pk_fma_f32 v[40:41], v[56:57], s[6:7], v[80:81] op_sel_hi:[0,1,1] neg_lo:[0,0,1] neg_hi:[0,0,1]
	v_pk_add_f32 v[2:3], v[40:41], v[2:3]
	v_mov_b32_e32 v40, v35
	s_mov_b32 s54, 0xbf06c442
	v_pk_add_f32 v[58:59], v[40:41], v[12:13] op_sel_hi:[0,1] neg_lo:[0,1] neg_hi:[0,1]
	s_mov_b32 s55, 0x3eb8f4ab
	s_mov_b32 s2, s37
	;; [unrolled: 1-line block ×3, first 2 shown]
	v_pk_add_f32 v[60:61], v[34:35], v[30:31]
	v_pk_mul_f32 v[88:89], v[58:59], s[54:55] op_sel_hi:[0,1]
	s_mov_b32 s56, s43
	s_mov_b32 s57, s50
	v_pk_fma_f32 v[40:41], v[60:61], s[2:3], v[88:89] op_sel_hi:[0,1,1] neg_lo:[0,0,1] neg_hi:[0,0,1]
	s_mov_b32 s38, s29
	s_mov_b32 s39, s10
	v_pk_mul_f32 v[70:71], v[52:53], s[56:57] op_sel_hi:[0,1]
	s_mov_b32 s58, s47
	s_mov_b32 s59, s41
	v_pk_add_f32 v[2:3], v[40:41], v[2:3]
	v_pk_fma_f32 v[40:41], v[50:51], s[38:39], v[70:71] op_sel_hi:[0,1,1] neg_lo:[0,0,1] neg_hi:[0,0,1]
	s_mov_b32 s12, s30
	s_mov_b32 s13, s27
	v_pk_mul_f32 v[82:83], v[52:53], s[58:59] op_sel:[1,0]
	s_mov_b32 s60, s46
	s_mov_b32 s61, s40
	v_pk_add_f32 v[4:5], v[4:5], v[40:41] op_sel_hi:[0,1]
	v_pk_fma_f32 v[40:41], v[50:51], s[12:13], v[82:83] op_sel:[1,0,0] neg_lo:[0,0,1] neg_hi:[0,0,1]
	s_mov_b32 s14, s34
	s_mov_b32 s15, s26
	v_pk_mul_f32 v[84:85], v[48:49], s[60:61] op_sel:[1,0]
	s_mov_b32 s62, s55
	s_mov_b32 s63, s43
	v_pk_add_f32 v[4:5], v[4:5], v[40:41]
	v_pk_fma_f32 v[40:41], v[46:47], s[14:15], v[84:85] op_sel:[1,0,0] neg_lo:[0,0,1] neg_hi:[0,0,1]
	s_mov_b32 s16, s10
	s_mov_b32 s17, s29
	v_pk_mul_f32 v[86:87], v[48:49], s[62:63] op_sel_hi:[0,1]
	s_mov_b32 s65, 0xbf763a35
	s_mov_b32 s64, s40
	v_pk_add_f32 v[4:5], v[4:5], v[40:41]
	v_pk_fma_f32 v[40:41], v[46:47], s[16:17], v[86:87] op_sel_hi:[0,1,1] neg_lo:[0,0,1] neg_hi:[0,0,1]
	s_mov_b32 s18, s26
	s_mov_b32 s19, s34
	v_pk_mul_f32 v[90:91], v[44:45], s[64:65] op_sel:[1,0]
	s_mov_b32 s66, s54
	s_mov_b32 s67, s42
	v_pk_add_f32 v[4:5], v[40:41], v[4:5]
	v_pk_fma_f32 v[40:41], v[42:43], s[18:19], v[90:91] op_sel:[1,0,0] neg_lo:[0,0,1] neg_hi:[0,0,1]
	s_mov_b32 s20, s37
	s_mov_b32 s21, s28
	v_pk_mul_f32 v[92:93], v[44:45], s[66:67] op_sel_hi:[0,1]
	s_mov_b32 s68, 0x3f4c4adb
	s_mov_b32 s69, s54
	v_pk_add_f32 v[4:5], v[40:41], v[4:5]
	v_pk_fma_f32 v[40:41], v[42:43], s[20:21], v[92:93] op_sel_hi:[0,1,1] neg_lo:[0,0,1] neg_hi:[0,0,1]
	s_mov_b32 s22, s28
	s_mov_b32 s23, s37
	v_pk_mul_f32 v[94:95], v[54:55], s[68:69] op_sel:[1,0]
	s_mov_b32 s70, s48
	s_mov_b32 s71, s47
	v_pk_add_f32 v[4:5], v[40:41], v[4:5]
	v_pk_fma_f32 v[40:41], v[56:57], s[22:23], v[94:95] op_sel_hi:[0,1,1] neg_lo:[0,0,1] neg_hi:[0,0,1]
	s_mov_b32 s24, s27
	s_mov_b32 s25, s30
	v_pk_mul_f32 v[64:65], v[58:59], s[70:71] op_sel_hi:[0,1]
	v_pk_add_f32 v[4:5], v[40:41], v[4:5]
	v_pk_fma_f32 v[40:41], v[60:61], s[24:25], v[64:65] op_sel_hi:[0,1,1] neg_lo:[0,0,1] neg_hi:[0,0,1]
	v_pk_add_f32 v[4:5], v[40:41], v[4:5]
	v_mov_b32_e32 v40, v35
	v_mov_b32_e32 v41, v35
	s_and_saveexec_b64 s[72:73], s[0:1]
	s_cbranch_execz .LBB0_13
; %bb.12:
	s_mov_b32 s76, s34
	s_mov_b32 s77, s37
	v_pk_mul_f32 v[98:99], v[50:51], s[76:77]
	s_mov_b32 s76, s65
	s_mov_b32 s77, s49
	v_pk_fma_f32 v[100:101], v[52:53], s[76:77], v[98:99] neg_lo:[1,0,0] neg_hi:[1,0,0]
	v_pk_mul_f32 v[102:103], v[46:47], s[26:27]
	s_mov_b32 s78, s40
	s_mov_b32 s79, s48
	v_add_f32_e32 v59, v31, v100
	v_mov_b32_e32 v62, v45
	v_mov_b32_e32 v63, v45
	s_mov_b32 s74, 0x3f7ee86f
	s_mov_b32 s75, s50
	v_pk_fma_f32 v[104:105], v[48:49], s[78:79], v[102:103] neg_lo:[1,0,0] neg_hi:[1,0,0]
	s_mov_b32 s80, s29
	s_mov_b32 s81, s30
	v_add_f32_e32 v59, v59, v101
	v_pk_mul_f32 v[62:63], v[62:63], s[74:75]
	v_pk_mul_f32 v[100:101], v[42:43], s[80:81]
	s_mov_b32 s75, s47
	v_add_f32_e32 v59, v59, v105
	v_add_f32_e32 v59, v104, v59
	v_pk_fma_f32 v[104:105], v[44:45], s[74:75], v[100:101] neg_lo:[1,0,0] neg_hi:[1,0,0]
	v_mov_b32_e32 v54, v31
	v_add_f32_e32 v59, v105, v59
	v_pk_fma_f32 v[98:99], v[52:53], s[76:77], v[98:99]
	v_add_f32_e32 v113, v104, v59
	v_pk_add_f32 v[104:105], v[54:55], v[98:99]
	v_mov_b32_e32 v98, v99
	v_pk_fma_f32 v[102:103], v[48:49], s[78:79], v[102:103]
	v_pk_add_f32 v[98:99], v[104:105], v[98:99]
	v_mov_b32_e32 v104, v103
	v_pk_add_f32 v[98:99], v[98:99], v[104:105]
	v_pk_fma_f32 v[100:101], v[44:45], s[74:75], v[100:101]
	v_mov_b32_e32 v104, v55
	v_mov_b32_e32 v105, v56
	s_mov_b32 s76, s50
	s_mov_b32 s77, s10
	v_pk_add_f32 v[98:99], v[102:103], v[98:99]
	v_mov_b32_e32 v102, v101
	v_pk_add_f32 v[98:99], v[102:103], v[98:99]
	v_pk_mul_f32 v[102:103], v[104:105], s[76:77]
	v_pk_mul_f32 v[96:97], v[50:51], s[38:39] op_sel_hi:[0,1]
	v_mov_b32_e32 v59, v102
	v_pk_mul_f32 v[106:107], v[50:51], s[12:13] op_sel:[1,0]
	v_pk_add_f32 v[98:99], v[100:101], v[98:99]
	v_pk_fma_f32 v[100:101], v[104:105], s[76:77], v[58:59]
	v_mov_b32_e32 v104, v70
	v_mov_b32_e32 v105, v82
	;; [unrolled: 1-line block ×4, first 2 shown]
	v_pk_add_f32 v[104:105], v[104:105], v[108:109]
	v_pk_mul_f32 v[110:111], v[46:47], s[14:15] op_sel:[1,0]
	v_pk_add_f32 v[108:109], v[54:55], v[104:105]
	v_mov_b32_e32 v70, v105
	v_pk_mul_f32 v[114:115], v[46:47], s[16:17] op_sel_hi:[0,1]
	v_pk_add_f32 v[104:105], v[108:109], v[70:71]
	v_mov_b32_e32 v108, v86
	v_mov_b32_e32 v109, v84
	;; [unrolled: 1-line block ×4, first 2 shown]
	v_pk_add_f32 v[108:109], v[108:109], v[116:117]
	s_movk_i32 s33, 0x44
	v_mov_b32_e32 v70, v109
	v_pk_add_f32 v[104:105], v[104:105], v[70:71]
	v_mad_u32_u24 v116, v112, s33, 0
	v_pk_add_f32 v[104:105], v[108:109], v[104:105]
	v_pk_mul_f32 v[108:109], v[50:51], s[26:27] op_sel_hi:[0,1]
	v_pk_add_f32 v[66:67], v[66:67], v[108:109]
	v_pk_mul_f32 v[108:109], v[50:51], s[28:29] op_sel:[1,0]
	v_mov_b32_e32 v96, v34
	v_pk_add_f32 v[68:69], v[68:69], v[108:109]
	v_mov_b32_e32 v108, v31
	v_mov_b32_e32 v109, v31
	v_pk_add_f32 v[66:67], v[108:109], v[66:67]
	v_pk_add_f32 v[84:85], v[84:85], v[110:111]
	;; [unrolled: 1-line block ×3, first 2 shown]
	v_pk_mul_f32 v[68:69], v[46:47], s[30:31] op_sel:[1,0]
	v_pk_add_f32 v[86:87], v[86:87], v[114:115]
	v_pk_add_f32 v[68:69], v[72:73], v[68:69]
	v_pk_mul_f32 v[72:73], v[60:61], s[2:3] op_sel_hi:[0,1]
	v_pk_add_f32 v[66:67], v[66:67], v[68:69]
	v_pk_mul_f32 v[68:69], v[46:47], s[34:35] op_sel_hi:[0,1]
	v_pk_add_f32 v[68:69], v[74:75], v[68:69]
	v_pk_add_f32 v[72:73], v[88:89], v[72:73]
	;; [unrolled: 1-line block ×3, first 2 shown]
	v_pk_mul_f32 v[68:69], v[42:43], s[36:37] op_sel:[1,0]
	v_pk_mul_f32 v[74:75], v[42:43], s[20:21] op_sel_hi:[0,1]
	v_pk_add_f32 v[68:69], v[76:77], v[68:69]
	v_mov_b32_e32 v84, v32
	v_pk_add_f32 v[66:67], v[68:69], v[66:67]
	v_pk_mul_f32 v[68:69], v[42:43], s[10:11] op_sel_hi:[0,1]
	v_pk_add_f32 v[68:69], v[78:79], v[68:69]
	v_mov_b32_e32 v86, v33
	v_pk_add_f32 v[66:67], v[68:69], v[66:67]
	v_pk_mul_f32 v[68:69], v[56:57], s[6:7] op_sel_hi:[0,1]
	v_pk_add_f32 v[68:69], v[80:81], v[68:69]
	v_pk_add_f32 v[80:81], v[82:83], v[106:107]
	;; [unrolled: 1-line block ×3, first 2 shown]
	v_pk_mul_f32 v[68:69], v[42:43], s[18:19] op_sel:[1,0]
	v_pk_add_f32 v[66:67], v[72:73], v[66:67]
	ds_write2_b32 v116, v67, v66 offset0:2 offset1:3
	v_mov_b32_e32 v66, v92
	v_mov_b32_e32 v72, v74
	v_pk_add_f32 v[74:75], v[92:93], v[74:75]
	v_pk_add_f32 v[92:93], v[54:55], v[6:7]
	v_mov_b32_e32 v54, v7
	v_pk_add_f32 v[92:93], v[92:93], v[54:55]
	v_mov_b32_e32 v54, v27
	;; [unrolled: 2-line block ×5, first 2 shown]
	v_pk_add_f32 v[92:93], v[92:93], v[8:9]
	v_pk_add_f32 v[66:67], v[66:67], v[72:73]
	;; [unrolled: 1-line block ×3, first 2 shown]
	v_mov_b32_e32 v80, v10
	v_mov_b32_e32 v93, v71
	v_pk_add_f32 v[92:93], v[92:93], v[96:97]
	v_mov_b32_e32 v70, v67
	v_pk_add_f32 v[92:93], v[92:93], v[30:31]
	v_pk_add_f32 v[72:73], v[70:71], v[104:105]
	;; [unrolled: 1-line block ×6, first 2 shown]
	v_pk_mul_f32 v[72:73], v[56:57], s[22:23] op_sel_hi:[0,1]
	v_pk_add_f32 v[80:81], v[80:81], v[86:87]
	v_mov_b32_e32 v68, v36
	v_pk_add_f32 v[72:73], v[94:95], v[72:73]
	v_pk_add_f32 v[68:69], v[80:81], v[68:69]
	v_mov_b32_e32 v74, v37
	v_pk_mul_f32 v[80:81], v[60:61], s[24:25] op_sel_hi:[0,1]
	v_pk_add_f32 v[68:69], v[68:69], v[74:75]
	v_mov_b32_e32 v74, v39
	v_mov_b32_e32 v75, v73
	v_mul_f32_e32 v61, 0xbf4c4adb, v58
	v_pk_add_f32 v[68:69], v[74:75], v[68:69]
	v_pk_add_f32 v[74:75], v[64:65], v[80:81]
	v_mul_f32_e32 v67, 0xbf1a4643, v60
	v_mov_b32_e32 v73, v61
	v_mov_b32_e32 v65, v101
	;; [unrolled: 1-line block ×5, first 2 shown]
	v_pk_add_f32 v[66:67], v[72:73], v[66:67]
	s_mov_b32 s74, s42
	s_mov_b32 s75, s54
	v_pk_add_f32 v[64:65], v[64:65], v[80:81]
	v_mov_b32_e32 v76, v50
	v_mov_b32_e32 v77, v50
	;; [unrolled: 1-line block ×4, first 2 shown]
	v_pk_mul_f32 v[78:79], v[78:79], s[74:75]
	s_mov_b32 s74, s46
	s_mov_b32 s75, s53
	v_pk_add_f32 v[64:65], v[66:67], v[64:65]
	v_mov_b32_e32 v82, v51
	v_mov_b32_e32 v83, v51
	;; [unrolled: 1-line block ×4, first 2 shown]
	v_pk_mul_f32 v[88:89], v[88:89], s[74:75]
	s_mov_b32 s74, s50
	s_mov_b32 s75, s43
	ds_write2_b32 v116, v64, v65 offset0:4 offset1:5
	v_pk_fma_f32 v[64:65], v[76:77], s[22:23], v[78:79]
	v_mov_b32_e32 v94, v47
	v_mov_b32_e32 v95, v47
	;; [unrolled: 1-line block ×4, first 2 shown]
	v_pk_mul_f32 v[90:91], v[90:91], s[74:75]
	s_mov_b32 s74, s54
	s_mov_b32 s75, s68
	v_pk_add_f32 v[64:65], v[108:109], v[64:65]
	v_pk_fma_f32 v[66:67], v[82:83], s[14:15], v[88:89]
	v_sub_f32_e32 v99, v103, v102
	v_mov_b32_e32 v102, v46
	v_mov_b32_e32 v103, v46
	v_pk_mul_f32 v[70:71], v[70:71], s[74:75]
	v_pk_add_f32 v[64:65], v[64:65], v[66:67]
	v_pk_fma_f32 v[66:67], v[94:95], s[16:17], v[90:91]
	v_mov_b32_e32 v96, v43
	v_mov_b32_e32 v97, v43
	;; [unrolled: 1-line block ×4, first 2 shown]
	s_mov_b32 s74, s41
	s_mov_b32 s75, s47
	v_pk_add_f32 v[64:65], v[64:65], v[66:67]
	v_pk_fma_f32 v[66:67], v[102:103], s[20:21], v[70:71]
	v_mov_b32_e32 v92, v42
	v_mov_b32_e32 v93, v42
	;; [unrolled: 1-line block ×3, first 2 shown]
	v_pk_mul_f32 v[84:85], v[84:85], s[74:75]
	s_mov_b32 s74, s47
	s_mov_b32 s75, s48
	v_pk_add_f32 v[64:65], v[66:67], v[64:65]
	v_pk_fma_f32 v[66:67], v[96:97], s[38:39], v[62:63]
	v_mov_b32_e32 v86, v56
	v_mov_b32_e32 v87, v56
	v_mov_b32_e32 v74, v38
	v_mov_b32_e32 v59, v58
	v_add_f32_e32 v57, v99, v113
	v_pk_mul_f32 v[98:99], v[54:55], s[74:75]
	s_mov_b32 s74, s53
	s_mov_b32 s75, s65
	v_pk_add_f32 v[64:65], v[66:67], v[64:65]
	v_pk_fma_f32 v[66:67], v[92:93], s[24:25], v[84:85]
	v_pk_add_f32 v[68:69], v[74:75], v[68:69]
	v_mov_b32_e32 v74, v60
	v_mov_b32_e32 v75, v60
	v_pk_mul_f32 v[80:81], v[58:59], s[74:75]
	v_pk_add_f32 v[64:65], v[66:67], v[64:65]
	v_pk_fma_f32 v[66:67], v[86:87], s[12:13], v[98:99]
	v_mul_f32_e32 v50, 0xbf7ba420, v50
	v_pk_add_f32 v[64:65], v[66:67], v[64:65]
	v_pk_fma_f32 v[66:67], v[74:75], s[18:19], v[80:81]
	v_mul_f32_e32 v52, 0xbe3c28d5, v52
	v_pk_add_f32 v[64:65], v[66:67], v[64:65]
	ds_write2_b32 v116, v68, v69 offset1:1
	v_mul_f32_e32 v68, 0x3f6eb680, v51
	v_mul_f32_e32 v72, 0x3eb8f4ab, v53
	ds_write2_b32 v116, v64, v65 offset0:6 offset1:7
	v_pk_add_f32 v[64:65], v[50:51], v[52:53]
	v_pk_add_f32 v[50:51], v[50:51], v[52:53] neg_lo:[0,1] neg_hi:[0,1]
	v_pk_add_f32 v[66:67], v[68:69], v[72:73] neg_lo:[0,1] neg_hi:[0,1]
	v_mov_b32_e32 v65, v50
	v_pk_add_f32 v[50:51], v[68:69], v[72:73]
	v_mul_f32_e32 v100, 0xbf59a7d5, v47
	v_mul_f32_e32 v54, 0xbf06c442, v49
	v_pk_add_f32 v[64:65], v[108:109], v[64:65]
	v_mov_b32_e32 v51, v66
	v_mul_f32_e32 v46, 0x3f3d2fb0, v46
	v_mul_f32_e32 v48, 0x3f2c7751, v48
	;; [unrolled: 1-line block ×3, first 2 shown]
	v_pk_add_f32 v[50:51], v[64:65], v[50:51]
	v_pk_add_f32 v[64:65], v[100:101], v[54:55]
	v_pk_add_f32 v[54:55], v[100:101], v[54:55] neg_lo:[0,1] neg_hi:[0,1]
	v_mul_f32_e32 v52, 0xbf1a4643, v43
	v_fma_f32 v43, v60, s28, -v61
	v_mov_b32_e32 v65, v54
	v_pk_add_f32 v[54:55], v[46:47], v[48:49]
	v_pk_add_f32 v[46:47], v[46:47], v[48:49] neg_lo:[0,1] neg_hi:[0,1]
	v_mul_f32_e32 v68, 0xbf4c4adb, v45
	v_add_f32_e32 v53, v43, v57
	v_pk_add_f32 v[50:51], v[50:51], v[64:65]
	v_mov_b32_e32 v55, v46
	v_pk_add_f32 v[46:47], v[54:55], v[50:51]
	v_pk_add_f32 v[48:49], v[52:53], v[68:69]
	v_pk_add_f32 v[50:51], v[52:53], v[68:69] neg_lo:[0,1] neg_hi:[0,1]
	v_mul_f32_e32 v42, 0x3ee437d1, v42
	v_mul_f32_e32 v44, 0x3f65296c, v44
	v_mov_b32_e32 v49, v50
	v_pk_add_f32 v[46:47], v[48:49], v[46:47]
	v_pk_add_f32 v[48:49], v[42:43], v[44:45]
	v_pk_add_f32 v[42:43], v[42:43], v[44:45] neg_lo:[0,1] neg_hi:[0,1]
	v_mul_f32_e32 v56, 0xbe8c1d8e, v56
	v_mov_b32_e32 v49, v42
	v_pk_add_f32 v[42:43], v[48:49], v[46:47]
	v_pk_add_f32 v[44:45], v[56:57], v[72:73]
	v_pk_add_f32 v[46:47], v[56:57], v[72:73] neg_lo:[0,1] neg_hi:[0,1]
	v_mul_f32_e32 v60, 0x3dbcf732, v60
	v_mul_f32_e32 v58, 0x3f7ee86f, v58
	v_mov_b32_e32 v45, v46
	v_pk_add_f32 v[42:43], v[44:45], v[42:43]
	v_pk_add_f32 v[44:45], v[60:61], v[58:59]
	v_pk_add_f32 v[46:47], v[60:61], v[58:59] neg_lo:[0,1] neg_hi:[0,1]
	s_nop 0
	v_mov_b32_e32 v45, v46
	v_pk_add_f32 v[42:43], v[44:45], v[42:43]
	ds_write2_b32 v116, v42, v43 offset0:8 offset1:9
	v_pk_fma_f32 v[42:43], v[76:77], s[22:23], v[78:79] neg_lo:[0,0,1] neg_hi:[0,0,1]
	v_pk_fma_f32 v[44:45], v[82:83], s[14:15], v[88:89] neg_lo:[0,0,1] neg_hi:[0,0,1]
	v_pk_add_f32 v[42:43], v[108:109], v[42:43]
	s_nop 0
	v_pk_add_f32 v[42:43], v[42:43], v[44:45]
	v_pk_fma_f32 v[44:45], v[94:95], s[16:17], v[90:91] neg_lo:[0,0,1] neg_hi:[0,0,1]
	s_nop 0
	v_pk_add_f32 v[42:43], v[42:43], v[44:45]
	v_pk_fma_f32 v[44:45], v[102:103], s[20:21], v[70:71] neg_lo:[0,0,1] neg_hi:[0,0,1]
	;; [unrolled: 3-line block ×6, first 2 shown]
	s_nop 0
	v_pk_add_f32 v[42:43], v[44:45], v[42:43]
	ds_write2_b32 v116, v43, v42 offset0:10 offset1:11
	ds_write_b32 v116, v53 offset:48
	ds_write2_b32 v116, v4, v2 offset0:13 offset1:14
	ds_write2_b32 v116, v3, v5 offset0:15 offset1:16
.LBB0_13:
	s_or_b64 exec, exec, s[72:73]
	v_mov_b32_e32 v43, v6
	v_mov_b32_e32 v45, v38
	;; [unrolled: 1-line block ×6, first 2 shown]
	v_pk_add_f32 v[72:73], v[6:7], v[38:39] neg_lo:[0,1] neg_hi:[0,1]
	v_mov_b32_e32 v6, v21
	v_mov_b32_e32 v7, v24
	;; [unrolled: 1-line block ×6, first 2 shown]
	v_pk_add_f32 v[64:65], v[6:7], v[38:39]
	v_mov_b32_e32 v6, v9
	v_mov_b32_e32 v7, v26
	;; [unrolled: 1-line block ×4, first 2 shown]
	v_pk_add_f32 v[46:47], v[42:43], v[44:45] neg_lo:[0,1] neg_hi:[0,1]
	v_pk_add_f32 v[66:67], v[6:7], v[26:27] neg_lo:[0,1] neg_hi:[0,1]
	v_mov_b32_e32 v6, v23
	v_mov_b32_e32 v7, v20
	;; [unrolled: 1-line block ×4, first 2 shown]
	v_pk_add_f32 v[80:81], v[42:43], v[44:45]
	v_mov_b32_e32 v42, v29
	v_mov_b32_e32 v43, v25
	;; [unrolled: 1-line block ×4, first 2 shown]
	v_pk_add_f32 v[60:61], v[6:7], v[26:27]
	v_mov_b32_e32 v6, v22
	v_mov_b32_e32 v7, v8
	;; [unrolled: 1-line block ×4, first 2 shown]
	v_pk_mul_f32 v[110:111], v[46:47], s[40:41] op_sel:[1,0]
	v_pk_add_f32 v[70:71], v[42:43], v[44:45]
	v_pk_add_f32 v[62:63], v[6:7], v[8:9] neg_lo:[0,1] neg_hi:[0,1]
	v_pk_fma_f32 v[6:7], v[80:81], s[26:27], v[110:111] op_sel_hi:[0,1,1]
	v_pk_mul_f32 v[108:109], v[72:73], s[42:43] op_sel_hi:[0,1]
	v_pk_add_f32 v[6:7], v[12:13], v[6:7] op_sel:[1,0]
	v_pk_fma_f32 v[8:9], v[70:71], s[28:29], v[108:109] op_sel_hi:[0,1,1]
	v_pk_mul_f32 v[106:107], v[72:73], s[44:45] op_sel:[1,0]
	v_pk_add_f32 v[6:7], v[6:7], v[8:9]
	v_pk_fma_f32 v[8:9], v[70:71], s[30:31], v[106:107] op_sel:[1,0,0]
	v_pk_mul_f32 v[104:105], v[66:67], s[46:47] op_sel:[1,0]
	v_pk_add_f32 v[6:7], v[6:7], v[8:9]
	v_pk_fma_f32 v[8:9], v[64:65], s[34:35], v[104:105] op_sel:[1,0,0]
	v_pk_mul_f32 v[102:103], v[66:67], s[48:49] op_sel_hi:[0,1]
	v_pk_add_f32 v[6:7], v[8:9], v[6:7]
	v_pk_fma_f32 v[8:9], v[64:65], s[36:37], v[102:103] op_sel_hi:[0,1,1]
	v_pk_mul_f32 v[100:101], v[62:63], s[50:51] op_sel:[1,0]
	v_pk_add_f32 v[44:45], v[34:35], v[30:31] neg_lo:[0,1] neg_hi:[0,1]
	v_pk_add_f32 v[6:7], v[8:9], v[6:7]
	v_pk_fma_f32 v[8:9], v[60:61], s[10:11], v[100:101] op_sel:[1,0,0]
	v_pk_mul_f32 v[98:99], v[62:63], s[52:53] op_sel_hi:[0,1]
	v_pk_add_f32 v[42:43], v[40:41], v[12:13]
	v_pk_add_f32 v[6:7], v[8:9], v[6:7]
	v_pk_fma_f32 v[8:9], v[60:61], s[6:7], v[98:99] op_sel_hi:[0,1,1]
	v_pk_mul_f32 v[96:97], v[44:45], s[54:55] op_sel_hi:[0,1]
	v_pk_add_f32 v[6:7], v[8:9], v[6:7]
	v_pk_fma_f32 v[8:9], v[42:43], s[2:3], v[96:97] op_sel_hi:[0,1,1]
	v_pk_mul_f32 v[92:93], v[46:47], s[56:57] op_sel:[1,0]
	v_pk_add_f32 v[6:7], v[8:9], v[6:7]
	v_pk_fma_f32 v[8:9], v[80:81], s[38:39], v[92:93] op_sel_hi:[0,1,1]
	v_pk_mul_f32 v[94:95], v[72:73], s[58:59] op_sel_hi:[0,1]
	v_pk_add_f32 v[8:9], v[12:13], v[8:9] op_sel:[1,0]
	v_pk_fma_f32 v[26:27], v[70:71], s[12:13], v[94:95] op_sel_hi:[0,1,1]
	v_pk_mul_f32 v[90:91], v[72:73], s[60:61] op_sel:[1,0]
	v_pk_add_f32 v[8:9], v[8:9], v[26:27]
	v_pk_fma_f32 v[26:27], v[70:71], s[14:15], v[90:91] op_sel:[1,0,0]
	v_pk_mul_f32 v[88:89], v[66:67], s[62:63] op_sel:[1,0]
	v_pk_add_f32 v[8:9], v[8:9], v[26:27]
	v_pk_fma_f32 v[26:27], v[64:65], s[16:17], v[88:89] op_sel:[1,0,0]
	v_pk_mul_f32 v[82:83], v[66:67], s[64:65] op_sel_hi:[0,1]
	v_pk_add_f32 v[8:9], v[26:27], v[8:9]
	v_pk_fma_f32 v[26:27], v[64:65], s[18:19], v[82:83] op_sel_hi:[0,1,1]
	v_pk_mul_f32 v[86:87], v[62:63], s[66:67] op_sel:[1,0]
	v_pk_add_f32 v[8:9], v[26:27], v[8:9]
	v_pk_fma_f32 v[26:27], v[60:61], s[20:21], v[86:87] op_sel:[1,0,0]
	v_pk_mul_f32 v[84:85], v[62:63], s[68:69] op_sel_hi:[0,1]
	v_lshl_add_u32 v113, v112, 2, 0
	v_pk_add_f32 v[8:9], v[26:27], v[8:9]
	v_pk_fma_f32 v[26:27], v[60:61], s[22:23], v[84:85] op_sel_hi:[0,1,1]
	v_add_u32_e32 v114, 0x400, v113
	v_add_u32_e32 v115, 0x800, v113
	v_add_u32_e32 v116, 0xe00, v113
	v_add_u32_e32 v117, 0x1200, v113
	v_add_u32_e32 v118, 0x1700, v113
	v_pk_add_f32 v[8:9], v[26:27], v[8:9]
	s_waitcnt lgkmcnt(0)
	s_barrier
	ds_read2_b32 v[26:27], v113 offset1:153
	ds_read2_b32 v[38:39], v114 offset0:50 offset1:203
	ds_read2_b32 v[36:37], v115 offset0:100 offset1:253
	ds_read2_b32 v[34:35], v116 offset0:22 offset1:175
	ds_read2_b32 v[32:33], v117 offset0:72 offset1:225
	ds_read2_b32 v[30:31], v118 offset0:58 offset1:211
	ds_read_b32 v10, v113 offset:7344
	v_pk_mul_f32 v[68:69], v[44:45], s[70:71] op_sel_hi:[0,1]
	v_pk_fma_f32 v[48:49], v[42:43], s[24:25], v[68:69] op_sel_hi:[0,1,1]
	v_pk_add_f32 v[8:9], v[48:49], v[8:9]
	s_waitcnt lgkmcnt(0)
	s_barrier
	s_and_saveexec_b64 s[40:41], s[0:1]
	s_cbranch_execz .LBB0_15
; %bb.14:
	v_mov_b32_e32 v22, v13
	v_pk_add_f32 v[132:133], v[22:23], v[28:29]
	v_mov_b32_e32 v28, v29
	v_pk_add_f32 v[28:29], v[132:133], v[28:29]
	;; [unrolled: 2-line block ×3, first 2 shown]
	v_pk_mul_f32 v[120:121], v[80:81], s[26:27] op_sel_hi:[0,1]
	v_pk_add_f32 v[24:25], v[28:29], v[24:25]
	v_mov_b32_e32 v28, v21
	v_pk_add_f32 v[24:25], v[24:25], v[28:29]
	v_pk_mul_f32 v[130:131], v[80:81], s[38:39] op_sel_hi:[0,1]
	v_pk_add_f32 v[20:21], v[24:25], v[20:21]
	v_mov_b32_e32 v24, v23
	v_mov_b32_e32 v81, v47
	s_mov_b32 s27, 0xbf763a35
	s_mov_b32 s26, 0xbe8c1d8e
	v_pk_mul_f32 v[128:129], v[64:65], s[36:37] op_sel_hi:[0,1]
	v_pk_add_f32 v[20:21], v[20:21], v[24:25]
	v_pk_mul_f32 v[24:25], v[80:81], s[26:27]
	s_mov_b32 s36, 0x3f06c442
	v_mov_b32_e32 v28, v25
	s_mov_b32 s37, 0x3f2c7751
	v_pk_add_f32 v[20:21], v[20:21], v[40:41]
	v_pk_fma_f32 v[28:29], v[80:81], s[26:27], v[28:29] neg_lo:[0,0,1] neg_hi:[0,0,1]
	s_mov_b32 s1, 0x3f3d2fb0
	s_mov_b32 s0, 0xbf59a7d5
	v_pk_mul_f32 v[40:41], v[72:73], s[36:37]
	v_pk_add_f32 v[28:29], v[22:23], v[28:29]
	v_pk_fma_f32 v[132:133], v[70:71], s[0:1], v[40:41] neg_lo:[0,0,1] neg_hi:[0,0,1]
	v_pk_mul_f32 v[122:123], v[70:71], s[28:29] op_sel_hi:[0,1]
	v_pk_mul_f32 v[124:125], v[70:71], s[30:31] op_sel:[1,0]
	s_mov_b32 s28, 0xbf7ba420
	s_mov_b32 s30, 0xbe3c28d5
	v_pk_add_f32 v[28:29], v[28:29], v[132:133]
	v_mov_b32_e32 v132, v133
	s_mov_b32 s31, 0xbf65296c
	s_mov_b32 s29, 0x3ee437d1
	v_pk_add_f32 v[28:29], v[28:29], v[132:133]
	v_pk_mul_f32 v[132:133], v[66:67], s[30:31]
	s_mov_b32 s38, 0xbeb8f4ab
	v_pk_fma_f32 v[134:135], v[64:65], s[28:29], v[132:133] neg_lo:[0,0,1] neg_hi:[0,0,1]
	v_add_f32_e32 v21, v24, v25
	v_mov_b32_e32 v136, v135
	v_pk_mul_f32 v[126:127], v[64:65], s[34:35] op_sel:[1,0]
	s_mov_b32 s34, 0x3f6eb680
	v_pk_add_f32 v[28:29], v[136:137], v[28:29]
	s_mov_b32 s39, 0x3f7ee86f
	v_pk_fma_f32 v[40:41], v[70:71], s[0:1], v[40:41]
	v_add_f32_e32 v21, v13, v21
	v_mov_b32_e32 v48, v13
	v_mov_b32_e32 v49, v13
	s_mov_b32 s35, 0x3dbcf732
	v_pk_add_f32 v[28:29], v[134:135], v[28:29]
	v_pk_mul_f32 v[134:135], v[62:63], s[38:39]
	v_add_f32_e32 v21, v21, v40
	v_pk_add_f32 v[110:111], v[120:121], v[110:111] neg_lo:[0,1] neg_hi:[0,1]
	v_pk_fma_f32 v[136:137], v[60:61], s[34:35], v[134:135] neg_lo:[0,0,1] neg_hi:[0,0,1]
	v_add_f32_e32 v21, v21, v41
	v_pk_fma_f32 v[132:133], v[64:65], s[28:29], v[132:133]
	v_pk_add_f32 v[108:109], v[122:123], v[108:109] neg_lo:[0,1] neg_hi:[0,1]
	v_pk_add_f32 v[110:111], v[48:49], v[110:111]
	v_mov_b32_e32 v138, v137
	v_add_f32_e32 v21, v133, v21
	v_pk_add_f32 v[108:109], v[110:111], v[108:109]
	v_pk_add_f32 v[106:107], v[124:125], v[106:107] neg_lo:[0,1] neg_hi:[0,1]
	v_pk_add_f32 v[28:29], v[138:139], v[28:29]
	v_add_f32_e32 v21, v132, v21
	v_pk_fma_f32 v[134:135], v[60:61], s[34:35], v[134:135]
	v_pk_add_f32 v[106:107], v[108:109], v[106:107]
	v_pk_add_f32 v[104:105], v[126:127], v[104:105] neg_lo:[0,1] neg_hi:[0,1]
	v_pk_add_f32 v[28:29], v[136:137], v[28:29]
	v_pk_mul_f32 v[24:25], v[60:61], s[10:11] op_sel:[1,0]
	v_add_f32_e32 v21, v135, v21
	v_pk_add_f32 v[104:105], v[104:105], v[106:107]
	v_pk_add_f32 v[102:103], v[128:129], v[102:103] neg_lo:[0,1] neg_hi:[0,1]
	v_add_f32_e32 v29, v134, v21
	v_pk_mul_f32 v[134:135], v[60:61], s[6:7] op_sel_hi:[0,1]
	v_pk_add_f32 v[102:103], v[102:103], v[104:105]
	v_pk_add_f32 v[24:25], v[24:25], v[100:101] neg_lo:[0,1] neg_hi:[0,1]
	v_pk_mul_f32 v[110:111], v[42:43], s[2:3] op_sel_hi:[0,1]
	v_pk_add_f32 v[24:25], v[24:25], v[102:103]
	v_pk_add_f32 v[98:99], v[134:135], v[98:99] neg_lo:[0,1] neg_hi:[0,1]
	;; [unrolled: 3-line block ×3, first 2 shown]
	v_pk_mul_f32 v[108:109], v[70:71], s[14:15] op_sel:[1,0]
	v_pk_add_f32 v[24:25], v[96:97], v[24:25]
	v_pk_add_f32 v[96:97], v[130:131], v[92:93] neg_lo:[0,1] neg_hi:[0,1]
	v_mov_b32_e32 v131, v124
	v_mov_b32_e32 v93, v94
	v_pk_add_f32 v[92:93], v[130:131], v[92:93] neg_lo:[0,1] neg_hi:[0,1]
	v_pk_mul_f32 v[126:127], v[64:65], s[16:17] op_sel:[1,0]
	v_pk_add_f32 v[22:23], v[22:23], v[92:93]
	v_mov_b32_e32 v92, v93
	v_pk_add_f32 v[22:23], v[22:23], v[92:93]
	v_pk_add_f32 v[92:93], v[126:127], v[88:89] neg_lo:[0,1] neg_hi:[0,1]
	v_mov_b32_e32 v127, v108
	v_mov_b32_e32 v89, v90
	v_pk_add_f32 v[88:89], v[126:127], v[88:89] neg_lo:[0,1] neg_hi:[0,1]
	v_pk_mul_f32 v[106:107], v[64:65], s[18:19] op_sel_hi:[0,1]
	v_pk_mul_f32 v[128:129], v[60:61], s[20:21] op_sel:[1,0]
	v_pk_add_f32 v[124:125], v[124:125], v[94:95] neg_lo:[0,1] neg_hi:[0,1]
	v_mov_b32_e32 v92, v89
	v_mov_b32_e32 v21, v97
	v_pk_add_f32 v[108:109], v[108:109], v[90:91] neg_lo:[0,1] neg_hi:[0,1]
	v_pk_add_f32 v[22:23], v[22:23], v[92:93]
	v_pk_add_f32 v[126:127], v[128:129], v[86:87] neg_lo:[0,1] neg_hi:[0,1]
	v_mov_b32_e32 v129, v106
	v_mov_b32_e32 v87, v82
	v_pk_add_f32 v[12:13], v[20:21], v[12:13]
	v_mov_b32_e32 v124, v11
	v_pk_add_f32 v[22:23], v[88:89], v[22:23]
	v_pk_add_f32 v[88:89], v[106:107], v[82:83] neg_lo:[0,1] neg_hi:[0,1]
	v_pk_add_f32 v[82:83], v[128:129], v[86:87] neg_lo:[0,1] neg_hi:[0,1]
	v_pk_add_f32 v[12:13], v[12:13], v[124:125]
	v_mov_b32_e32 v108, v14
	v_mov_b32_e32 v86, v83
	v_pk_add_f32 v[12:13], v[12:13], v[108:109]
	v_mov_b32_e32 v92, v15
	v_pk_mul_f32 v[104:105], v[60:61], s[22:23] op_sel_hi:[0,1]
	v_pk_add_f32 v[22:23], v[86:87], v[22:23]
	v_pk_add_f32 v[12:13], v[12:13], v[92:93]
	v_mov_b32_e32 v88, v16
	v_pk_add_f32 v[22:23], v[82:83], v[22:23]
	v_pk_add_f32 v[82:83], v[104:105], v[84:85] neg_lo:[0,1] neg_hi:[0,1]
	v_pk_add_f32 v[12:13], v[12:13], v[88:89]
	v_mov_b32_e32 v126, v17
	v_pk_mul_f32 v[100:101], v[42:43], s[24:25] op_sel_hi:[0,1]
	v_pk_add_f32 v[12:13], v[12:13], v[126:127]
	v_mov_b32_e32 v14, v19
	v_mov_b32_e32 v15, v83
	v_pk_add_f32 v[12:13], v[14:15], v[12:13]
	v_pk_add_f32 v[14:15], v[100:101], v[68:69] neg_lo:[0,1] neg_hi:[0,1]
	s_mov_b32 s10, 0xbf4c4adb
	v_mov_b32_e32 v19, v15
	v_pk_add_f32 v[12:13], v[18:19], v[12:13]
	v_mul_f32_e32 v17, 0xbf1a4643, v42
	v_mul_f32_e32 v19, 0xbf4c4adb, v44
	v_mov_b32_e32 v16, v22
	v_mov_b32_e32 v18, v82
	;; [unrolled: 1-line block ×3, first 2 shown]
	s_mov_b32 s11, 0xbf06c442
	s_mov_b32 s6, 0x3f763a35
	v_pk_add_f32 v[20:21], v[22:23], v[82:83]
	v_pk_add_f32 v[16:17], v[16:17], v[18:19] neg_lo:[0,1] neg_hi:[0,1]
	v_mov_b32_e32 v50, v80
	v_mov_b32_e32 v51, v80
	;; [unrolled: 1-line block ×4, first 2 shown]
	s_mov_b32 s2, 0xbf1a4643
	s_mov_b32 s7, 0x3f65296c
	v_mov_b32_e32 v21, v17
	v_mov_b32_e32 v15, v28
	v_fmac_f32_e32 v19, 0xbf1a4643, v42
	s_mov_b32 s3, s0
	v_pk_mul_f32 v[16:17], v[46:47], s[10:11]
	v_mov_b32_e32 v52, v70
	v_mov_b32_e32 v53, v70
	;; [unrolled: 1-line block ×4, first 2 shown]
	v_mul_f32_e32 v96, 0x3ee437d1, v61
	v_pk_add_f32 v[14:15], v[20:21], v[14:15]
	v_add_f32_e32 v61, v19, v29
	v_pk_fma_f32 v[18:19], v[50:51], s[2:3], v[16:17] neg_lo:[0,0,1] neg_hi:[0,0,1]
	s_mov_b32 s12, s26
	s_mov_b32 s13, s29
	v_pk_mul_f32 v[20:21], v[78:79], s[6:7]
	v_mov_b32_e32 v76, v73
	v_mov_b32_e32 v77, v73
	v_pk_add_f32 v[18:19], v[48:49], v[18:19]
	v_pk_fma_f32 v[22:23], v[52:53], s[12:13], v[20:21] neg_lo:[0,0,1] neg_hi:[0,0,1]
	s_mov_b32 s15, 0xbf7ee86f
	s_mov_b32 s14, s38
	v_mov_b32_e32 v54, v71
	v_mov_b32_e32 v55, v71
	v_pk_add_f32 v[18:19], v[18:19], v[22:23]
	v_pk_mul_f32 v[22:23], v[76:77], s[14:15]
	v_mov_b32_e32 v74, v67
	v_mov_b32_e32 v75, v67
	v_pk_fma_f32 v[28:29], v[54:55], s[34:35], v[22:23] neg_lo:[0,0,1] neg_hi:[0,0,1]
	s_mov_b32 s17, 0x3f4c4adb
	s_mov_b32 s16, s11
	v_mov_b32_e32 v56, v65
	v_mov_b32_e32 v57, v65
	v_pk_add_f32 v[18:19], v[18:19], v[28:29]
	s_mov_b32 s14, s0
	s_mov_b32 s15, s2
	v_pk_mul_f32 v[28:29], v[74:75], s[16:17]
	v_mov_b32_e32 v138, v66
	v_mov_b32_e32 v139, v66
	v_mul_f32_e32 v102, 0xbe3c28d5, v47
	v_pk_fma_f32 v[46:47], v[56:57], s[14:15], v[28:29] neg_lo:[0,0,1] neg_hi:[0,0,1]
	s_mov_b32 s16, s39
	s_mov_b32 s17, s38
	v_pk_fma_f32 v[16:17], v[50:51], s[2:3], v[16:17]
	v_mov_b32_e32 v58, v64
	v_mov_b32_e32 v59, v64
	;; [unrolled: 1-line block ×4, first 2 shown]
	v_pk_add_f32 v[18:19], v[46:47], v[18:19]
	s_mov_b32 s10, s35
	s_mov_b32 s11, s34
	v_pk_mul_f32 v[46:47], v[138:139], s[16:17]
	s_mov_b32 s18, 0xbf2c7751
	s_mov_b32 s19, s30
	v_pk_add_f32 v[16:17], v[48:49], v[16:17]
	v_pk_fma_f32 v[20:21], v[52:53], s[12:13], v[20:21]
	v_pk_fma_f32 v[68:69], v[58:59], s[10:11], v[46:47] neg_lo:[0,0,1] neg_hi:[0,0,1]
	s_mov_b32 s16, s1
	s_mov_b32 s17, s28
	v_pk_mul_f32 v[40:41], v[40:41], s[18:19]
	v_pk_add_f32 v[16:17], v[16:17], v[20:21]
	v_pk_fma_f32 v[20:21], v[54:55], s[34:35], v[22:23]
	v_mov_b32_e32 v120, v62
	v_mov_b32_e32 v121, v62
	v_pk_add_f32 v[18:19], v[68:69], v[18:19]
	v_pk_fma_f32 v[68:69], v[136:137], s[16:17], v[40:41] neg_lo:[0,0,1] neg_hi:[0,0,1]
	s_mov_b32 s31, s37
	v_pk_add_f32 v[16:17], v[16:17], v[20:21]
	v_pk_fma_f32 v[20:21], v[56:57], s[14:15], v[28:29]
	v_mov_b32_e32 v132, v60
	v_mov_b32_e32 v133, v60
	v_pk_add_f32 v[18:19], v[68:69], v[18:19]
	s_mov_b32 s0, s28
	v_pk_mul_f32 v[68:69], v[120:121], s[30:31]
	v_pk_add_f32 v[16:17], v[20:21], v[16:17]
	v_pk_fma_f32 v[20:21], v[58:59], s[10:11], v[46:47]
	v_mov_b32_e32 v45, v44
	v_pk_fma_f32 v[74:75], v[132:133], s[0:1], v[68:69] neg_lo:[0,0,1] neg_hi:[0,0,1]
	s_mov_b32 s19, s26
	s_mov_b32 s26, s7
	v_pk_add_f32 v[16:17], v[20:21], v[16:17]
	v_pk_fma_f32 v[20:21], v[136:137], s[16:17], v[40:41]
	v_mov_b32_e32 v122, v42
	v_mov_b32_e32 v123, v42
	v_mul_f32_e32 v80, 0xbf7ba420, v80
	v_pk_add_f32 v[18:19], v[74:75], v[18:19]
	s_mov_b32 s18, s29
	v_pk_mul_f32 v[74:75], v[44:45], s[26:27]
	v_pk_add_f32 v[16:17], v[20:21], v[16:17]
	v_pk_fma_f32 v[20:21], v[132:133], s[0:1], v[68:69]
	v_mul_f32_e32 v70, 0x3f6eb680, v70
	v_mul_f32_e32 v72, 0x3eb8f4ab, v72
	v_pk_add_f32 v[16:17], v[20:21], v[16:17]
	v_pk_fma_f32 v[20:21], v[122:123], s[18:19], v[74:75]
	v_pk_add_f32 v[28:29], v[80:81], v[102:103] neg_lo:[0,1] neg_hi:[0,1]
	v_pk_add_f32 v[40:41], v[80:81], v[102:103]
	v_pk_add_f32 v[16:17], v[20:21], v[16:17]
	v_mul_f32_e32 v20, 0x3dbcf732, v42
	v_mov_b32_e32 v29, v40
	v_pk_add_f32 v[40:41], v[70:71], v[72:73] neg_lo:[0,1] neg_hi:[0,1]
	v_pk_add_f32 v[42:43], v[70:71], v[72:73]
	v_mul_f32_e32 v98, 0xbf59a7d5, v71
	v_mul_f32_e32 v134, 0xbf06c442, v73
	v_pk_add_f32 v[28:29], v[48:49], v[28:29]
	v_mov_b32_e32 v41, v42
	v_pk_add_f32 v[28:29], v[28:29], v[40:41]
	v_pk_add_f32 v[40:41], v[98:99], v[134:135] neg_lo:[0,1] neg_hi:[0,1]
	v_pk_add_f32 v[42:43], v[98:99], v[134:135]
	v_mul_f32_e32 v110, 0x3f3d2fb0, v65
	v_mul_f32_e32 v94, 0x3f2c7751, v67
	v_mov_b32_e32 v41, v42
	v_pk_add_f32 v[28:29], v[28:29], v[40:41]
	v_pk_add_f32 v[40:41], v[110:111], v[94:95] neg_lo:[0,1] neg_hi:[0,1]
	v_pk_add_f32 v[42:43], v[110:111], v[94:95]
	v_mul_f32_e32 v64, 0xbf1a4643, v64
	v_mul_f32_e32 v66, 0xbf4c4adb, v66
	v_mov_b32_e32 v41, v42
	v_pk_add_f32 v[28:29], v[40:41], v[28:29]
	v_pk_add_f32 v[40:41], v[64:65], v[66:67] neg_lo:[0,1] neg_hi:[0,1]
	v_pk_add_f32 v[42:43], v[64:65], v[66:67]
	v_mul_f32_e32 v90, 0x3f65296c, v63
	v_mov_b32_e32 v41, v42
	v_pk_add_f32 v[28:29], v[40:41], v[28:29]
	v_pk_add_f32 v[40:41], v[96:97], v[90:91] neg_lo:[0,1] neg_hi:[0,1]
	v_pk_add_f32 v[42:43], v[96:97], v[90:91]
	v_mul_f32_e32 v60, 0xbe8c1d8e, v60
	v_mul_f32_e32 v62, 0xbf763a35, v62
	v_mov_b32_e32 v41, v42
	v_pk_add_f32 v[28:29], v[40:41], v[28:29]
	v_pk_add_f32 v[40:41], v[60:61], v[62:63] neg_lo:[0,1] neg_hi:[0,1]
	v_pk_add_f32 v[42:43], v[60:61], v[62:63]
	v_mul_f32_e32 v22, 0x3f7ee86f, v44
	v_mov_b32_e32 v41, v42
	v_pk_add_f32 v[28:29], v[40:41], v[28:29]
	v_pk_add_f32 v[40:41], v[20:21], v[22:23] neg_lo:[0,1] neg_hi:[0,1]
	v_pk_add_f32 v[20:21], v[20:21], v[22:23]
	v_pk_fma_f32 v[76:77], v[122:123], s[18:19], v[74:75] neg_lo:[0,0,1] neg_hi:[0,0,1]
	v_mov_b32_e32 v41, v20
	v_lshl_add_u32 v22, v112, 6, v113
	v_pk_add_f32 v[18:19], v[76:77], v[18:19]
	v_pk_add_f32 v[20:21], v[40:41], v[28:29]
	ds_write2_b32 v22, v12, v13 offset1:1
	ds_write2_b32 v22, v25, v24 offset0:2 offset1:3
	ds_write2_b32 v22, v14, v15 offset0:4 offset1:5
	;; [unrolled: 1-line block ×5, first 2 shown]
	ds_write_b32 v22, v61 offset:48
	ds_write2_b32 v22, v8, v6 offset0:13 offset1:14
	ds_write2_b32 v22, v7, v9 offset0:15 offset1:16
.LBB0_15:
	s_or_b64 exec, exec, s[40:41]
	s_movk_i32 s0, 0xf1
	v_mul_lo_u16_sdwa v11, v112, s0 dst_sel:DWORD dst_unused:UNUSED_PAD src0_sel:BYTE_0 src1_sel:DWORD
	v_lshrrev_b16_e32 v74, 12, v11
	v_mul_lo_u16_e32 v11, 17, v74
	v_sub_u16_e32 v75, v112, v11
	v_mov_b32_e32 v11, 12
	v_mul_u32_u24_sdwa v11, v75, v11 dst_sel:DWORD dst_unused:UNUSED_PAD src0_sel:BYTE_0 src1_sel:DWORD
	v_lshlrev_b32_e32 v11, 3, v11
	s_waitcnt lgkmcnt(0)
	s_barrier
	global_load_dwordx4 v[12:15], v11, s[4:5]
	global_load_dwordx4 v[16:19], v11, s[4:5] offset:16
	global_load_dwordx4 v[52:55], v11, s[4:5] offset:32
	;; [unrolled: 1-line block ×5, first 2 shown]
	ds_read2_b32 v[22:23], v113 offset1:153
	ds_read2_b32 v[20:21], v114 offset0:50 offset1:203
	ds_read2_b32 v[24:25], v115 offset0:100 offset1:253
	;; [unrolled: 1-line block ×5, first 2 shown]
	ds_read_b32 v11, v113 offset:7344
	s_mov_b32 s2, 0xbf3f9e67
	s_mov_b32 s0, 0xbf788fa5
	;; [unrolled: 1-line block ×26, first 2 shown]
	s_waitcnt lgkmcnt(0)
	s_barrier
	s_waitcnt vmcnt(5)
	v_mul_f32_e32 v48, v23, v13
	v_mul_f32_e32 v46, v20, v15
	v_fmac_f32_e32 v48, v27, v12
	s_waitcnt vmcnt(4)
	v_mul_f32_e32 v44, v21, v17
	v_fmac_f32_e32 v46, v38, v14
	s_waitcnt vmcnt(0)
	v_mul_f32_e32 v50, v11, v67
	v_mul_f32_e32 v67, v10, v67
	v_fmac_f32_e32 v50, v10, v66
	v_add_f32_e32 v10, v26, v48
	v_mul_f32_e32 v42, v24, v19
	v_fmac_f32_e32 v44, v39, v16
	v_add_f32_e32 v10, v10, v46
	;; [unrolled: 3-line block ×3, first 2 shown]
	v_mul_f32_e32 v28, v38, v15
	v_mul_f32_e32 v15, v68, v55
	v_fmac_f32_e32 v40, v37, v52
	v_add_f32_e32 v10, v10, v42
	v_mul_f32_e32 v29, v69, v57
	v_fmac_f32_e32 v15, v34, v54
	v_add_f32_e32 v10, v10, v40
	;; [unrolled: 3-line block ×3, first 2 shown]
	v_mul_f32_e32 v13, v27, v13
	v_mul_f32_e32 v43, v71, v61
	v_fmac_f32_e32 v41, v32, v58
	v_add_f32_e32 v10, v10, v29
	v_mul_f32_e32 v57, v35, v57
	v_mul_f32_e32 v45, v72, v63
	v_fma_f32 v51, v23, v12, -v13
	v_fmac_f32_e32 v43, v33, v60
	v_fma_f32 v35, v11, v66, -v67
	v_add_f32_e32 v10, v10, v41
	v_mul_f32_e32 v47, v73, v65
	v_mul_f32_e32 v65, v31, v65
	v_fma_f32 v49, v20, v14, -v28
	v_fmac_f32_e32 v45, v30, v62
	v_sub_f32_e32 v14, v51, v35
	v_add_f32_e32 v10, v10, v43
	v_mul_f32_e32 v17, v39, v17
	v_mul_f32_e32 v19, v36, v19
	v_fmac_f32_e32 v47, v31, v64
	v_fma_f32 v31, v73, v64, -v65
	v_add_f32_e32 v12, v48, v50
	v_mul_f32_e32 v11, 0xbf29c268, v14
	v_add_f32_e32 v10, v10, v45
	v_fma_f32 v39, v21, v16, -v17
	v_fma_f32 v38, v24, v18, -v19
	v_mul_f32_e32 v13, 0xbe750f2a, v14
	v_fmamk_f32 v16, v12, 0xbf3f9e67, v11
	v_add_f32_e32 v10, v10, v47
	v_sub_f32_e32 v18, v49, v31
	v_fma_f32 v11, v12, s2, -v11
	v_fmamk_f32 v17, v12, 0xbf788fa5, v13
	v_add_f32_e32 v19, v26, v16
	v_add_f32_e32 v21, v10, v50
	v_fma_f32 v10, v12, s0, -v13
	v_add_f32_e32 v16, v46, v47
	v_mul_f32_e32 v13, 0x3f7e222b, v18
	v_mul_f32_e32 v63, v30, v63
	v_add_f32_e32 v11, v26, v11
	v_fmamk_f32 v20, v16, 0x3df6dbef, v13
	v_fma_f32 v13, v16, s1, -v13
	v_fma_f32 v30, v72, v62, -v63
	v_add_f32_e32 v11, v13, v11
	v_mul_f32_e32 v13, 0x3eedf032, v18
	v_add_f32_e32 v17, v26, v17
	v_add_f32_e32 v10, v26, v10
	;; [unrolled: 1-line block ×3, first 2 shown]
	v_fmamk_f32 v20, v16, 0x3f62ad3f, v13
	v_fma_f32 v13, v16, s13, -v13
	v_sub_f32_e32 v24, v39, v30
	v_mul_f32_e32 v53, v37, v53
	v_add_f32_e32 v17, v20, v17
	v_add_f32_e32 v10, v13, v10
	;; [unrolled: 1-line block ×3, first 2 shown]
	v_mul_f32_e32 v13, 0xbf52af12, v24
	v_mul_f32_e32 v61, v33, v61
	v_fma_f32 v36, v25, v52, -v53
	v_fmamk_f32 v25, v20, 0x3f116cb1, v13
	v_fma_f32 v13, v20, s12, -v13
	v_fma_f32 v33, v71, v60, -v61
	v_add_f32_e32 v11, v13, v11
	v_mul_f32_e32 v13, 0xbf29c268, v24
	v_mul_f32_e32 v55, v34, v55
	v_add_f32_e32 v19, v25, v19
	v_fmamk_f32 v25, v20, 0xbf3f9e67, v13
	v_fma_f32 v13, v20, s2, -v13
	v_sub_f32_e32 v34, v38, v33
	v_add_f32_e32 v10, v13, v10
	v_add_f32_e32 v28, v42, v43
	v_mul_f32_e32 v13, 0x3e750f2a, v34
	v_mul_f32_e32 v59, v32, v59
	v_add_f32_e32 v17, v25, v17
	v_fmamk_f32 v25, v28, 0xbf788fa5, v13
	v_fma_f32 v13, v28, s0, -v13
	v_fma_f32 v32, v70, v58, -v59
	v_add_f32_e32 v11, v13, v11
	v_mul_f32_e32 v13, 0x3f52af12, v34
	v_fma_f32 v23, v68, v54, -v55
	v_add_f32_e32 v19, v25, v19
	v_fmamk_f32 v25, v28, 0x3f116cb1, v13
	v_fma_f32 v13, v28, s12, -v13
	v_sub_f32_e32 v54, v36, v32
	v_add_f32_e32 v10, v13, v10
	v_add_f32_e32 v52, v40, v41
	v_mul_f32_e32 v13, 0x3eedf032, v54
	v_add_f32_e32 v17, v25, v17
	v_fmamk_f32 v25, v52, 0x3f62ad3f, v13
	v_fma_f32 v13, v52, s13, -v13
	v_add_f32_e32 v37, v13, v11
	v_mul_f32_e32 v11, 0xbf6f5d39, v54
	v_fmamk_f32 v13, v52, 0xbeb58ec6, v11
	v_fma_f32 v11, v52, s20, -v11
	v_add_f32_e32 v55, v11, v10
	v_pk_mul_f32 v[10:11], v[14:15], s[14:15] op_sel_hi:[0,1]
	v_pk_fma_f32 v[60:61], v[12:13], s[12:13], v[10:11] op_sel_hi:[0,1,1]
	v_add_f32_e32 v53, v13, v17
	v_add_f32_e32 v13, v26, v61
	;; [unrolled: 1-line block ×3, first 2 shown]
	v_pk_mul_f32 v[60:61], v[18:19], s[22:23] op_sel_hi:[0,1]
	v_pk_fma_f32 v[62:63], v[16:17], s[20:21], v[60:61] op_sel_hi:[0,1,1]
	v_fma_f32 v27, v69, v56, -v57
	v_pk_fma_f32 v[10:11], v[12:13], s[12:13], v[10:11] op_sel_hi:[0,1,1] neg_lo:[0,0,1] neg_hi:[0,0,1]
	v_add_f32_e32 v17, v62, v17
	v_add_f32_e32 v25, v25, v19
	v_pk_add_f32 v[10:11], v[26:27], v[10:11] op_sel_hi:[0,1]
	v_pk_fma_f32 v[60:61], v[16:17], s[20:21], v[60:61] op_sel_hi:[0,1,1] neg_lo:[0,0,1] neg_hi:[0,0,1]
	v_pk_add_f32 v[10:11], v[60:61], v[10:11]
	v_pk_mul_f32 v[60:61], v[24:25], s[10:11] op_sel_hi:[0,1]
	v_add_f32_e32 v13, v63, v13
	v_pk_fma_f32 v[62:63], v[20:21], s[0:1], v[60:61] op_sel_hi:[0,1,1]
	v_pk_fma_f32 v[60:61], v[20:21], s[0:1], v[60:61] op_sel_hi:[0,1,1] neg_lo:[0,0,1] neg_hi:[0,0,1]
	v_pk_add_f32 v[10:11], v[60:61], v[10:11]
	v_pk_mul_f32 v[60:61], v[34:35], s[24:25] op_sel_hi:[0,1]
	v_add_f32_e32 v13, v63, v13
	v_add_f32_e32 v17, v62, v17
	v_pk_fma_f32 v[62:63], v[28:29], s[2:3], v[60:61] op_sel_hi:[0,1,1]
	v_pk_fma_f32 v[60:61], v[28:29], s[2:3], v[60:61] op_sel_hi:[0,1,1] neg_lo:[0,0,1] neg_hi:[0,0,1]
	v_pk_add_f32 v[10:11], v[60:61], v[10:11]
	v_pk_mul_f32 v[60:61], v[54:55], s[6:7] op_sel_hi:[0,1]
	v_sub_f32_e32 v58, v23, v27
	v_add_f32_e32 v13, v63, v13
	v_add_f32_e32 v17, v62, v17
	v_pk_fma_f32 v[62:63], v[52:53], s[26:27], v[60:61] op_sel_hi:[0,1,1]
	v_pk_fma_f32 v[60:61], v[52:53], s[26:27], v[60:61] op_sel_hi:[0,1,1] neg_lo:[0,0,1] neg_hi:[0,0,1]
	v_add_f32_e32 v56, v15, v29
	v_pk_add_f32 v[10:11], v[60:61], v[10:11]
	s_mov_b32 s26, s13
	s_mov_b32 s27, s0
	v_pk_mul_f32 v[60:61], v[58:59], s[16:17] op_sel_hi:[0,1]
	v_add_f32_e32 v13, v63, v13
	v_add_f32_e32 v17, v62, v17
	v_pk_fma_f32 v[62:63], v[56:57], s[26:27], v[60:61] op_sel_hi:[0,1,1]
	v_add_f32_e32 v57, v63, v13
	v_pk_fma_f32 v[60:61], v[56:57], s[26:27], v[60:61] op_sel_hi:[0,1,1] neg_lo:[0,0,1] neg_hi:[0,0,1]
	v_pk_add_f32 v[10:11], v[60:61], v[10:11]
	s_mov_b32 s26, s1
	s_mov_b32 s27, s20
	v_pk_mul_f32 v[60:61], v[14:15], s[28:29] op_sel_hi:[0,1]
	v_add_f32_e32 v59, v62, v17
	v_pk_fma_f32 v[62:63], v[12:13], s[26:27], v[60:61] op_sel_hi:[0,1,1]
	v_pk_fma_f32 v[12:13], v[12:13], s[26:27], v[60:61] op_sel_hi:[0,1,1] neg_lo:[0,0,1] neg_hi:[0,0,1]
	s_mov_b32 s26, s10
	s_mov_b32 s27, s24
	v_add_f32_e32 v17, v26, v63
	s_mov_b32 s22, s0
	s_mov_b32 s23, s2
	v_pk_mul_f32 v[18:19], v[18:19], s[26:27] op_sel_hi:[0,1]
	v_pk_fma_f32 v[60:61], v[16:17], s[22:23], v[18:19] op_sel_hi:[0,1,1]
	v_add_f32_e32 v14, v26, v62
	v_pk_add_f32 v[12:13], v[26:27], v[12:13] op_sel_hi:[0,1]
	v_add_f32_e32 v26, v61, v17
	v_pk_fma_f32 v[16:17], v[16:17], s[22:23], v[18:19] op_sel_hi:[0,1,1] neg_lo:[0,0,1] neg_hi:[0,0,1]
	s_mov_b32 s22, 0x3f6f5d39
	s_mov_b32 s23, s16
	v_pk_add_f32 v[12:13], v[16:17], v[12:13]
	s_mov_b32 s21, s13
	v_pk_mul_f32 v[16:17], v[24:25], s[22:23] op_sel_hi:[0,1]
	v_pk_fma_f32 v[18:19], v[20:21], s[20:21], v[16:17] op_sel_hi:[0,1,1]
	v_pk_fma_f32 v[16:17], v[20:21], s[20:21], v[16:17] op_sel_hi:[0,1,1] neg_lo:[0,0,1] neg_hi:[0,0,1]
	s_mov_b32 s17, s11
	v_add_f32_e32 v14, v60, v14
	v_pk_add_f32 v[12:13], v[16:17], v[12:13]
	s_mov_b32 s22, s13
	s_mov_b32 s23, s1
	v_pk_mul_f32 v[16:17], v[34:35], s[16:17] op_sel_hi:[0,1]
	v_add_f32_e32 v14, v18, v14
	v_add_f32_e32 v24, v19, v26
	v_pk_fma_f32 v[18:19], v[28:29], s[22:23], v[16:17] op_sel_hi:[0,1,1]
	v_pk_fma_f32 v[16:17], v[28:29], s[22:23], v[16:17] op_sel_hi:[0,1,1] neg_lo:[0,0,1] neg_hi:[0,0,1]
	s_mov_b32 s15, s18
	v_pk_add_f32 v[12:13], v[16:17], v[12:13]
	s_mov_b32 s13, s0
	v_pk_mul_f32 v[16:17], v[54:55], s[14:15] op_sel_hi:[0,1]
	v_add_f32_e32 v14, v18, v14
	v_add_f32_e32 v20, v19, v24
	v_pk_fma_f32 v[18:19], v[52:53], s[12:13], v[16:17] op_sel_hi:[0,1,1]
	v_pk_fma_f32 v[16:17], v[52:53], s[12:13], v[16:17] op_sel_hi:[0,1,1] neg_lo:[0,0,1] neg_hi:[0,0,1]
	s_mov_b32 s18, s7
	v_pk_add_f32 v[12:13], v[16:17], v[12:13]
	s_mov_b32 s3, s12
	v_pk_mul_f32 v[16:17], v[58:59], s[18:19] op_sel_hi:[0,1]
	v_add_f32_e32 v14, v18, v14
	v_add_f32_e32 v20, v19, v20
	v_pk_fma_f32 v[18:19], v[56:57], s[2:3], v[16:17] op_sel_hi:[0,1,1]
	v_pk_fma_f32 v[16:17], v[56:57], s[2:3], v[16:17] op_sel_hi:[0,1,1] neg_lo:[0,0,1] neg_hi:[0,0,1]
	v_pk_add_f32 v[12:13], v[16:17], v[12:13]
	v_mul_f32_e32 v16, 0xbf6f5d39, v58
	v_fmamk_f32 v17, v56, 0xbeb58ec6, v16
	v_add_f32_e32 v17, v17, v25
	v_mov_b32_e32 v25, 2
	v_add_f32_e32 v14, v18, v14
	v_add_f32_e32 v18, v19, v20
	v_mul_f32_e32 v19, 0x3f7e222b, v58
	v_mul_u32_u24_e32 v24, 0x374, v74
	v_lshlrev_b32_sdwa v25, v25, v75 dst_sel:DWORD dst_unused:UNUSED_PAD src0_sel:DWORD src1_sel:BYTE_0
	v_fma_f32 v16, v56, s20, -v16
	v_fmamk_f32 v20, v56, 0x3df6dbef, v19
	v_fma_f32 v19, v56, s1, -v19
	v_add3_u32 v34, 0, v24, v25
	v_add_f32_e32 v16, v16, v37
	v_add_f32_e32 v20, v20, v53
	;; [unrolled: 1-line block ×3, first 2 shown]
	ds_write2_b32 v34, v21, v57 offset1:17
	ds_write2_b32 v34, v59, v14 offset0:34 offset1:51
	ds_write2_b32 v34, v18, v17 offset0:68 offset1:85
	;; [unrolled: 1-line block ×5, first 2 shown]
	ds_write_b32 v34, v11 offset:816
	v_add_u32_e32 v14, 0x680, v113
	s_waitcnt lgkmcnt(0)
	s_barrier
	ds_read2_b32 v[18:19], v14 offset0:26 offset1:247
	v_add_u32_e32 v14, 0xd80, v113
	ds_read2_b32 v[24:25], v14 offset0:20 offset1:241
	v_add_u32_e32 v14, 0x1480, v113
	ds_read2_b32 v[16:17], v113 offset1:221
	ds_read2_b32 v[20:21], v14 offset0:14 offset1:235
	ds_read_b32 v28, v113 offset:7072
	s_movk_i32 s0, 0x44
	s_movk_i32 s2, 0x43
	v_cmp_gt_u32_e64 s[0:1], s0, v112
	v_cmp_lt_u32_e64 s[2:3], s2, v112
	s_and_saveexec_b64 s[6:7], s[2:3]
	s_xor_b64 s[6:7], exec, s[6:7]
	s_or_saveexec_b64 s[6:7], s[6:7]
                                        ; implicit-def: $vgpr14
	s_xor_b64 exec, exec, s[6:7]
	s_cbranch_execz .LBB0_17
; %bb.16:
	v_add_u32_e32 v2, 0x200, v113
	ds_read2_b32 v[52:53], v2 offset0:25 offset1:246
	v_add_u32_e32 v2, 0x1000, v113
	v_add_u32_e32 v4, 0x1700, v113
	ds_read2_b32 v[2:3], v2 offset0:13 offset1:234
	ds_read2_b32 v[12:13], v4 offset0:7 offset1:228
	v_add_u32_e32 v4, 0x900, v113
	ds_read2_b32 v[10:11], v4 offset0:19 offset1:240
	ds_read_b32 v14, v113 offset:7684
	s_waitcnt lgkmcnt(3)
	v_mov_b32_e32 v4, v2
	s_waitcnt lgkmcnt(2)
	v_mov_b32_e32 v5, v13
	v_mov_b32_e32 v2, v3
	v_mov_b32_e32 v3, v12
	v_mov_b32_e32 v12, v53
	v_mov_b32_e32 v13, v52
.LBB0_17:
	s_or_b64 exec, exec, s[6:7]
	v_add_f32_e32 v26, v22, v51
	v_add_f32_e32 v26, v26, v49
	;; [unrolled: 1-line block ×11, first 2 shown]
	v_sub_f32_e32 v48, v48, v50
	v_mul_f32_e32 v50, 0xbf788fa5, v52
	v_add_f32_e32 v26, v26, v31
	v_fmamk_f32 v51, v48, 0x3e750f2a, v50
	v_fmac_f32_e32 v50, 0xbe750f2a, v48
	v_add_f32_e32 v37, v26, v35
	v_mul_f32_e32 v26, 0xbf3f9e67, v52
	v_add_f32_e32 v53, v22, v50
	v_add_f32_e32 v50, v49, v31
	v_fmamk_f32 v35, v48, 0x3f29c268, v26
	v_fmac_f32_e32 v26, 0xbf29c268, v48
	v_sub_f32_e32 v46, v46, v47
	v_mul_f32_e32 v31, 0x3df6dbef, v50
	v_add_f32_e32 v30, v39, v30
	v_add_f32_e32 v26, v22, v26
	v_fmamk_f32 v47, v46, 0xbf7e222b, v31
	v_fmac_f32_e32 v31, 0x3f7e222b, v46
	v_sub_f32_e32 v44, v44, v45
	v_mul_f32_e32 v39, 0x3f116cb1, v30
	v_add_f32_e32 v35, v22, v35
	v_add_f32_e32 v26, v31, v26
	v_mul_f32_e32 v31, 0x3f62ad3f, v50
	v_fmamk_f32 v45, v44, 0x3f52af12, v39
	v_fmac_f32_e32 v39, 0xbf52af12, v44
	v_add_f32_e32 v35, v47, v35
	v_fmamk_f32 v47, v46, 0xbeedf032, v31
	v_fmac_f32_e32 v31, 0x3eedf032, v46
	v_add_f32_e32 v26, v39, v26
	v_mul_f32_e32 v39, 0xbf3f9e67, v30
	v_add_f32_e32 v38, v38, v33
	v_add_f32_e32 v31, v31, v53
	;; [unrolled: 1-line block ×3, first 2 shown]
	v_fmamk_f32 v45, v44, 0x3f29c268, v39
	v_fmac_f32_e32 v39, 0xbf29c268, v44
	v_sub_f32_e32 v42, v42, v43
	v_mul_f32_e32 v33, 0xbf788fa5, v38
	v_add_f32_e32 v31, v39, v31
	v_fmamk_f32 v39, v42, 0xbe750f2a, v33
	v_fmac_f32_e32 v33, 0x3e750f2a, v42
	v_add_f32_e32 v26, v33, v26
	v_mul_f32_e32 v33, 0x3f116cb1, v38
	v_add_f32_e32 v35, v39, v35
	v_fmamk_f32 v39, v42, 0xbf52af12, v33
	v_fmac_f32_e32 v33, 0x3f52af12, v42
	v_add_f32_e32 v32, v36, v32
	v_add_f32_e32 v31, v33, v31
	v_sub_f32_e32 v36, v40, v41
	v_mul_f32_e32 v33, 0x3f62ad3f, v32
	v_add_f32_e32 v51, v22, v51
	v_fmamk_f32 v40, v36, 0xbeedf032, v33
	v_fmac_f32_e32 v33, 0x3eedf032, v36
	v_add_f32_e32 v47, v47, v51
	v_add_f32_e32 v41, v33, v26
	v_mul_f32_e32 v26, 0xbeb58ec6, v32
	s_mov_b32 s15, 0x3f62ad3f
	s_mov_b32 s14, 0x3f116cb1
	v_add_f32_e32 v45, v45, v47
	v_fmamk_f32 v33, v36, 0x3f6f5d39, v26
	v_fmac_f32_e32 v26, 0xbf6f5d39, v36
	s_mov_b32 s19, 0xbeedf032
	s_mov_b32 s18, 0xbf52af12
	v_add_f32_e32 v39, v39, v45
	v_add_f32_e32 v35, v40, v35
	;; [unrolled: 1-line block ×4, first 2 shown]
	v_pk_mul_f32 v[26:27], v[52:53], s[14:15] op_sel_hi:[0,1]
	s_mov_b32 s28, 0xbeb58ec6
	v_pk_fma_f32 v[56:57], v[48:49], s[18:19], v[26:27] op_sel_hi:[0,1,1] neg_lo:[1,0,0] neg_hi:[1,0,0]
	s_mov_b32 s29, s14
	s_mov_b32 s12, 0xbf788fa5
	;; [unrolled: 1-line block ×3, first 2 shown]
	v_sub_f32_e32 v54, v15, v29
	v_add_f32_e32 v15, v22, v57
	v_add_f32_e32 v23, v22, v56
	v_pk_fma_f32 v[26:27], v[48:49], s[18:19], v[26:27] op_sel_hi:[0,1,1]
	v_pk_mul_f32 v[56:57], v[50:51], s[28:29] op_sel_hi:[0,1]
	s_mov_b32 s31, s18
	s_mov_b32 s13, 0x3df6dbef
	;; [unrolled: 1-line block ×3, first 2 shown]
	v_pk_add_f32 v[26:27], v[22:23], v[26:27] op_sel_hi:[0,1]
	v_pk_fma_f32 v[58:59], v[46:47], s[30:31], v[56:57] op_sel_hi:[0,1,1] neg_lo:[1,0,0] neg_hi:[1,0,0]
	v_pk_fma_f32 v[56:57], v[46:47], s[30:31], v[56:57] op_sel_hi:[0,1,1]
	s_mov_b32 s17, 0xbf7e222b
	v_pk_add_f32 v[26:27], v[56:57], v[26:27]
	v_pk_mul_f32 v[56:57], v[30:31], s[12:13] op_sel_hi:[0,1]
	s_mov_b32 s6, 0xbf3f9e67
	v_add_f32_e32 v15, v59, v15
	v_add_f32_e32 v23, v58, v23
	v_pk_fma_f32 v[58:59], v[44:45], s[16:17], v[56:57] op_sel_hi:[0,1,1] neg_lo:[1,0,0] neg_hi:[1,0,0]
	v_pk_fma_f32 v[56:57], v[44:45], s[16:17], v[56:57] op_sel_hi:[0,1,1]
	s_mov_b32 s7, s28
	s_mov_b32 s20, 0x3f29c268
	v_add_f32_e32 v43, v33, v39
	v_pk_add_f32 v[26:27], v[56:57], v[26:27]
	v_pk_mul_f32 v[56:57], v[38:39], s[6:7] op_sel_hi:[0,1]
	s_mov_b32 s21, s30
	s_mov_b32 s10, 0x3f7e222b
	v_add_f32_e32 v15, v59, v15
	v_add_f32_e32 v23, v58, v23
	v_pk_fma_f32 v[58:59], v[42:43], s[20:21], v[56:57] op_sel_hi:[0,1,1] neg_lo:[1,0,0] neg_hi:[1,0,0]
	v_pk_fma_f32 v[56:57], v[42:43], s[20:21], v[56:57] op_sel_hi:[0,1,1]
	s_mov_b32 s34, s13
	s_mov_b32 s35, s6
	;; [unrolled: 1-line block ×3, first 2 shown]
	v_pk_add_f32 v[26:27], v[56:57], v[26:27]
	v_pk_mul_f32 v[56:57], v[32:33], s[34:35] op_sel_hi:[0,1]
	v_add_f32_e32 v15, v59, v15
	v_add_f32_e32 v23, v58, v23
	v_pk_fma_f32 v[58:59], v[36:37], s[10:11], v[56:57] op_sel_hi:[0,1,1] neg_lo:[1,0,0] neg_hi:[1,0,0]
	v_pk_fma_f32 v[56:57], v[36:37], s[10:11], v[56:57] op_sel_hi:[0,1,1]
	s_mov_b32 s34, s15
	s_mov_b32 s35, s12
	;; [unrolled: 1-line block ×3, first 2 shown]
	v_pk_add_f32 v[26:27], v[56:57], v[26:27]
	v_pk_mul_f32 v[56:57], v[40:41], s[34:35] op_sel_hi:[0,1]
	s_mov_b32 s25, s16
	s_mov_b32 s34, s13
	;; [unrolled: 1-line block ×3, first 2 shown]
	v_add_f32_e32 v15, v59, v15
	v_add_f32_e32 v23, v58, v23
	v_pk_fma_f32 v[58:59], v[54:55], s[24:25], v[56:57] op_sel_hi:[0,1,1] neg_lo:[1,0,0] neg_hi:[1,0,0]
	v_pk_fma_f32 v[56:57], v[54:55], s[24:25], v[56:57] op_sel_hi:[0,1,1]
	v_pk_mul_f32 v[52:53], v[52:53], s[34:35] op_sel_hi:[0,1]
	s_mov_b32 s34, s17
	s_mov_b32 s35, s30
	v_pk_add_f32 v[26:27], v[56:57], v[26:27]
	v_pk_fma_f32 v[56:57], v[48:49], s[34:35], v[52:53] op_sel_hi:[0,1,1] neg_lo:[1,0,0] neg_hi:[1,0,0]
	v_pk_fma_f32 v[48:49], v[48:49], s[34:35], v[52:53] op_sel_hi:[0,1,1]
	s_mov_b32 s30, s12
	s_mov_b32 s31, s6
	v_add_f32_e32 v29, v58, v23
	v_add_f32_e32 v31, v22, v56
	;; [unrolled: 1-line block ×3, first 2 shown]
	v_pk_add_f32 v[22:23], v[22:23], v[48:49] op_sel_hi:[0,1]
	v_pk_mul_f32 v[48:49], v[50:51], s[30:31] op_sel_hi:[0,1]
	s_mov_b32 s30, s16
	s_mov_b32 s31, s20
	v_pk_fma_f32 v[50:51], v[46:47], s[30:31], v[48:49] op_sel_hi:[0,1,1] neg_lo:[1,0,0] neg_hi:[1,0,0]
	s_mov_b32 s29, s15
	s_mov_b32 s26, 0x3f6f5d39
	v_add_f32_e32 v39, v50, v31
	v_pk_fma_f32 v[46:47], v[46:47], s[30:31], v[48:49] op_sel_hi:[0,1,1]
	v_pk_mul_f32 v[30:31], v[30:31], s[28:29] op_sel_hi:[0,1]
	s_mov_b32 s27, s24
	v_pk_add_f32 v[22:23], v[46:47], v[22:23]
	v_pk_fma_f32 v[46:47], v[44:45], s[26:27], v[30:31] op_sel_hi:[0,1,1] neg_lo:[1,0,0] neg_hi:[1,0,0]
	v_pk_fma_f32 v[30:31], v[44:45], s[26:27], v[30:31] op_sel_hi:[0,1,1]
	s_mov_b32 s20, s15
	s_mov_b32 s21, s13
	v_add_f32_e32 v33, v51, v33
	v_pk_add_f32 v[22:23], v[30:31], v[22:23]
	v_pk_mul_f32 v[30:31], v[38:39], s[20:21] op_sel_hi:[0,1]
	s_mov_b32 s25, s17
	s_mov_b32 s22, 0x3e750f2a
	v_add_f32_e32 v46, v46, v39
	v_add_f32_e32 v33, v47, v33
	v_pk_fma_f32 v[38:39], v[42:43], s[24:25], v[30:31] op_sel_hi:[0,1,1] neg_lo:[1,0,0] neg_hi:[1,0,0]
	v_pk_fma_f32 v[30:31], v[42:43], s[24:25], v[30:31] op_sel_hi:[0,1,1]
	s_mov_b32 s15, s12
	v_pk_add_f32 v[22:23], v[30:31], v[22:23]
	v_pk_mul_f32 v[30:31], v[32:33], s[14:15] op_sel_hi:[0,1]
	s_mov_b32 s19, s22
	v_add_f32_e32 v39, v39, v33
	v_pk_fma_f32 v[32:33], v[36:37], s[18:19], v[30:31] op_sel_hi:[0,1,1] neg_lo:[1,0,0] neg_hi:[1,0,0]
	v_pk_fma_f32 v[30:31], v[36:37], s[18:19], v[30:31] op_sel_hi:[0,1,1]
	s_mov_b32 s7, s14
	s_mov_b32 s23, 0x3f52af12
	v_add_f32_e32 v38, v38, v46
	v_pk_add_f32 v[22:23], v[30:31], v[22:23]
	v_pk_mul_f32 v[30:31], v[40:41], s[6:7] op_sel_hi:[0,1]
	s_mov_b32 s22, s11
	v_add_f32_e32 v38, v32, v38
	v_add_f32_e32 v39, v33, v39
	v_pk_fma_f32 v[32:33], v[54:55], s[22:23], v[30:31] op_sel_hi:[0,1,1] neg_lo:[1,0,0] neg_hi:[1,0,0]
	v_pk_fma_f32 v[30:31], v[54:55], s[22:23], v[30:31] op_sel_hi:[0,1,1]
	v_pk_add_f32 v[22:23], v[30:31], v[22:23]
	v_mul_f32_e32 v30, 0xbeb58ec6, v40
	v_fmamk_f32 v31, v54, 0x3f6f5d39, v30
	v_add_f32_e32 v31, v31, v35
	v_mul_f32_e32 v35, 0x3df6dbef, v40
	v_add_f32_e32 v15, v59, v15
	v_fmac_f32_e32 v30, 0xbf6f5d39, v54
	v_fmamk_f32 v36, v54, 0xbf7e222b, v35
	v_fmac_f32_e32 v35, 0x3f7e222b, v54
	v_add_f32_e32 v32, v32, v38
	v_add_f32_e32 v33, v33, v39
	;; [unrolled: 1-line block ×5, first 2 shown]
	s_waitcnt lgkmcnt(0)
	s_barrier
	ds_write2_b32 v34, v37, v15 offset1:17
	ds_write2_b32 v34, v29, v32 offset0:34 offset1:51
	ds_write2_b32 v34, v33, v31 offset0:68 offset1:85
	;; [unrolled: 1-line block ×5, first 2 shown]
	ds_write_b32 v34, v27 offset:816
	v_add_u32_e32 v15, 0x680, v113
	s_waitcnt lgkmcnt(0)
	s_barrier
	ds_read2_b32 v[36:37], v15 offset0:26 offset1:247
	v_add_u32_e32 v15, 0xd80, v113
	ds_read2_b32 v[40:41], v15 offset0:20 offset1:241
	v_add_u32_e32 v15, 0x1480, v113
	ds_read2_b32 v[32:33], v113 offset1:221
	ds_read2_b32 v[38:39], v15 offset0:14 offset1:235
	ds_read_b32 v42, v113 offset:7072
	s_and_saveexec_b64 s[6:7], s[2:3]
	s_xor_b64 s[2:3], exec, s[6:7]
	s_cbranch_execnz .LBB0_21
; %bb.18:
	s_or_saveexec_b64 s[2:3], s[2:3]
                                        ; implicit-def: $vgpr30
	s_xor_b64 exec, exec, s[2:3]
	s_cbranch_execnz .LBB0_22
.LBB0_19:
	s_or_b64 exec, exec, s[2:3]
	s_and_saveexec_b64 s[2:3], vcc
	s_cbranch_execnz .LBB0_23
.LBB0_20:
	s_endpgm
.LBB0_21:
                                        ; implicit-def: $vgpr113
	s_or_saveexec_b64 s[2:3], s[2:3]
                                        ; implicit-def: $vgpr30
	s_xor_b64 exec, exec, s[2:3]
	s_cbranch_execz .LBB0_19
.LBB0_22:
	v_add_u32_e32 v6, 0x200, v113
	ds_read2_b32 v[34:35], v6 offset0:25 offset1:246
	v_add_u32_e32 v6, 0x1000, v113
	v_add_u32_e32 v8, 0x1700, v113
	ds_read2_b32 v[6:7], v6 offset0:13 offset1:234
	ds_read2_b32 v[22:23], v8 offset0:7 offset1:228
	v_add_u32_e32 v8, 0x900, v113
	ds_read2_b32 v[26:27], v8 offset0:19 offset1:240
	ds_read_b32 v30, v113 offset:7684
	s_waitcnt lgkmcnt(3)
	v_mov_b32_e32 v8, v6
	s_waitcnt lgkmcnt(2)
	v_mov_b32_e32 v9, v23
	v_mov_b32_e32 v6, v7
	;; [unrolled: 1-line block ×5, first 2 shown]
	s_or_b64 exec, exec, s[2:3]
	s_and_saveexec_b64 s[2:3], vcc
	s_cbranch_execz .LBB0_20
.LBB0_23:
	v_lshlrev_b32_e32 v34, 3, v112
	v_mov_b32_e32 v35, 0
	v_lshl_add_u64 v[56:57], v[34:35], 3, s[4:5]
	global_load_dwordx4 v[44:47], v[56:57], off offset:1680
	global_load_dwordx4 v[48:51], v[56:57], off offset:1648
	;; [unrolled: 1-line block ×3, first 2 shown]
	v_mad_u64_u32 v[60:61], s[2:3], s8, v112, 0
	global_load_dwordx4 v[56:59], v[56:57], off offset:1664
	v_add_u32_e32 v15, 0xdd, v112
	v_add_u32_e32 v29, 0x1ba, v112
	;; [unrolled: 1-line block ×8, first 2 shown]
	v_mov_b32_e32 v66, v61
	v_mad_u64_u32 v[68:69], s[2:3], s8, v15, 0
	v_mad_u64_u32 v[70:71], s[2:3], s8, v29, 0
	;; [unrolled: 1-line block ×9, first 2 shown]
	v_mov_b32_e32 v84, v69
	v_mov_b32_e32 v86, v71
	;; [unrolled: 1-line block ×9, first 2 shown]
	v_mad_u64_u32 v[66:67], s[2:3], s9, v15, v[84:85]
	v_mad_u64_u32 v[84:85], s[2:3], s9, v29, v[86:87]
	;; [unrolled: 1-line block ×8, first 2 shown]
	s_waitcnt lgkmcnt(1)
	v_mov_b32_e32 v34, v39
	v_mov_b32_e32 v69, v66
	;; [unrolled: 1-line block ×11, first 2 shown]
	v_lshl_add_u64 v[66:67], v[68:69], 3, v[0:1]
	v_lshl_add_u64 v[68:69], v[70:71], 3, v[0:1]
	v_lshl_add_u64 v[70:71], v[72:73], 3, v[0:1]
	v_lshl_add_u64 v[72:73], v[74:75], 3, v[0:1]
	v_lshl_add_u64 v[74:75], v[76:77], 3, v[0:1]
	v_lshl_add_u64 v[76:77], v[78:79], 3, v[0:1]
	v_lshl_add_u64 v[78:79], v[80:81], 3, v[0:1]
	v_lshl_add_u64 v[80:81], v[82:83], 3, v[0:1]
	s_mov_b32 s16, 0x3f248dbb
	s_mov_b32 s17, 0x3f7c1c5c
	s_mov_b32 s2, 0x3f5db3d7
	s_waitcnt vmcnt(3)
	v_pk_mul_f32 v[82:83], v[34:35], v[44:45] op_sel_hi:[0,1]
	v_pk_fma_f32 v[62:63], v[62:63], v[44:45], v[82:83] op_sel:[0,0,1] op_sel_hi:[1,1,0]
	v_pk_fma_f32 v[44:45], v[64:65], v[44:45], v[82:83] op_sel:[0,0,1] op_sel_hi:[0,1,0] neg_lo:[1,0,0] neg_hi:[1,0,0]
	s_waitcnt vmcnt(1)
	v_pk_mul_f32 v[64:65], v[36:37], v[54:55] op_sel_hi:[0,1]
	v_pk_fma_f32 v[82:83], v[18:19], v[54:55], v[64:65] op_sel:[0,0,1] op_sel_hi:[1,1,0]
	v_pk_fma_f32 v[54:55], v[18:19], v[54:55], v[64:65] op_sel:[0,0,1] op_sel_hi:[0,1,0] neg_lo:[1,0,0] neg_hi:[1,0,0]
	s_waitcnt lgkmcnt(0)
	v_pk_mul_f32 v[42:43], v[42:43], v[46:47] op_sel_hi:[0,1]
	v_mov_b32_e32 v18, v33
	v_pk_fma_f32 v[64:65], v[28:29], v[46:47], v[42:43] op_sel:[0,0,1] op_sel_hi:[1,1,0]
	v_pk_fma_f32 v[28:29], v[28:29], v[46:47], v[42:43] op_sel:[0,0,1] op_sel_hi:[0,1,0] neg_lo:[1,0,0] neg_hi:[1,0,0]
	v_pk_mul_f32 v[42:43], v[18:19], v[52:53] op_sel_hi:[0,1]
	v_mov_b32_e32 v18, v17
	v_pk_fma_f32 v[46:47], v[18:19], v[52:53], v[42:43] op_sel:[0,0,1] op_sel_hi:[1,1,0]
	v_pk_fma_f32 v[42:43], v[18:19], v[52:53], v[42:43] op_sel:[0,0,1] op_sel_hi:[0,1,0] neg_lo:[1,0,0] neg_hi:[1,0,0]
	v_mov_b32_e32 v65, v29
	v_mov_b32_e32 v47, v43
	;; [unrolled: 1-line block ×12, first 2 shown]
	v_pk_add_f32 v[28:29], v[42:43], v[28:29] neg_lo:[0,1] neg_hi:[0,1]
	s_waitcnt vmcnt(0)
	v_pk_mul_f32 v[42:43], v[18:19], v[56:57] op_sel_hi:[0,1]
	v_mov_b32_e32 v18, v25
	v_pk_add_f32 v[44:45], v[52:53], v[44:45] neg_lo:[0,1] neg_hi:[0,1]
	v_pk_fma_f32 v[52:53], v[18:19], v[56:57], v[42:43] op_sel:[0,0,1] op_sel_hi:[1,1,0]
	v_pk_fma_f32 v[42:43], v[18:19], v[56:57], v[42:43] op_sel:[0,0,1] op_sel_hi:[0,1,0] neg_lo:[1,0,0] neg_hi:[1,0,0]
	v_pk_mul_f32 v[40:41], v[40:41], v[50:51] op_sel_hi:[0,1]
	v_pk_mul_f32 v[38:39], v[38:39], v[58:59] op_sel_hi:[0,1]
	v_mov_b32_e32 v53, v43
	v_pk_fma_f32 v[42:43], v[24:25], v[50:51], v[40:41] op_sel:[0,0,1] op_sel_hi:[1,1,0]
	v_pk_fma_f32 v[24:25], v[24:25], v[50:51], v[40:41] op_sel:[0,0,1] op_sel_hi:[0,1,0] neg_lo:[1,0,0] neg_hi:[1,0,0]
	v_pk_fma_f32 v[40:41], v[20:21], v[58:59], v[38:39] op_sel:[0,0,1] op_sel_hi:[1,1,0]
	v_pk_fma_f32 v[20:21], v[20:21], v[58:59], v[38:39] op_sel:[0,0,1] op_sel_hi:[0,1,0] neg_lo:[1,0,0] neg_hi:[1,0,0]
	v_mov_b32_e32 v18, v37
	v_mov_b32_e32 v41, v21
	v_pk_mul_f32 v[20:21], v[18:19], v[48:49] op_sel_hi:[0,1]
	v_mov_b32_e32 v18, v19
	v_pk_fma_f32 v[36:37], v[18:19], v[48:49], v[20:21] op_sel:[0,0,1] op_sel_hi:[1,1,0]
	v_pk_fma_f32 v[18:19], v[18:19], v[48:49], v[20:21] op_sel:[0,0,1] op_sel_hi:[0,1,0] neg_lo:[1,0,0] neg_hi:[1,0,0]
	v_mov_b32_e32 v83, v55
	v_mov_b32_e32 v37, v19
	v_mov_b32_e32 v43, v25
	v_pk_add_f32 v[18:19], v[36:37], v[40:41] neg_lo:[0,1] neg_hi:[0,1]
	v_pk_add_f32 v[20:21], v[82:83], v[62:63]
	v_pk_add_f32 v[36:37], v[36:37], v[40:41]
	;; [unrolled: 1-line block ×5, first 2 shown]
	v_pk_mul_f32 v[46:47], v[28:29], s[16:17]
	s_mov_b32 s20, s17
	s_mov_b32 s21, s16
	v_pk_add_f32 v[88:89], v[64:65], v[38:39]
	v_pk_add_f32 v[64:65], v[36:37], v[64:65]
	v_pk_add_f32 v[24:25], v[42:43], v[52:53] neg_lo:[0,1] neg_hi:[0,1]
	v_pk_mul_f32 v[18:19], v[18:19], s[2:3] op_sel_hi:[1,0]
	v_pk_fma_f32 v[46:47], v[44:45], s[20:21], v[46:47]
	v_pk_add_f32 v[42:43], v[42:43], v[64:65]
	v_pk_add_f32 v[46:47], v[18:19], v[46:47] op_sel:[1,0] op_sel_hi:[0,1]
	s_mov_b32 s6, 0x3eaf1d44
	s_mov_b32 s12, 0x3f441b7d
	v_mov_b32_e32 v17, v32
	v_mov_b32_e32 v55, v29
	;; [unrolled: 1-line block ×3, first 2 shown]
	s_mov_b32 s22, s17
	s_mov_b32 s18, 0xbf248dbb
	v_pk_add_f32 v[42:43], v[52:53], v[42:43]
	v_pk_fma_f32 v[46:47], v[24:25], s[6:7], v[46:47] op_sel:[1,0,0] op_sel_hi:[0,0,1]
	s_mov_b32 s10, 0x3e31d0d4
	v_pk_fma_f32 v[32:33], v[40:41], s[12:13], v[16:17] op_sel_hi:[1,0,1]
	v_mov_b32_e32 v54, v44
	v_pk_mul_f32 v[44:45], v[24:25], s[18:19] op_sel:[1,0] op_sel_hi:[0,0]
	v_pk_fma_f32 v[56:57], v[38:39], s[12:13], v[16:17] op_sel_hi:[1,0,1]
	v_pk_add_f32 v[82:83], v[28:29], v[24:25] op_sel:[0,1] op_sel_hi:[1,0]
	v_pk_add_f32 v[86:87], v[16:17], v[36:37]
	v_pk_add_f32 v[42:43], v[16:17], v[42:43]
	v_pk_mul_f32 v[24:25], v[24:25], s[22:23] op_sel:[1,0] op_sel_hi:[0,0]
	v_pk_fma_f32 v[16:17], v[20:21], s[12:13], v[16:17] op_sel_hi:[1,0,1]
	v_pk_fma_f32 v[32:33], v[20:21], s[10:11], v[32:33] op_sel_hi:[1,0,1]
	;; [unrolled: 1-line block ×4, first 2 shown]
	v_pk_fma_f32 v[24:25], v[54:55], s[18:19], v[24:25] op_sel_hi:[1,0,1] neg_lo:[0,0,1] neg_hi:[0,0,1]
	v_pk_fma_f32 v[16:17], v[38:39], s[10:11], v[16:17] op_sel_hi:[1,0,1]
	v_pk_fma_f32 v[32:33], v[36:37], 0.5, v[32:33] op_sel_hi:[1,0,1] neg_lo:[1,0,0] neg_hi:[1,0,0]
	s_mov_b32 s14, 0x3f708fb2
	v_pk_add_f32 v[44:45], v[44:45], v[18:19] op_sel:[0,1] op_sel_hi:[1,0] neg_lo:[0,1] neg_hi:[0,1]
	v_pk_fma_f32 v[56:57], v[36:37], 0.5, v[56:57] op_sel_hi:[1,0,1] neg_lo:[1,0,0] neg_hi:[1,0,0]
	v_pk_add_f32 v[18:19], v[18:19], v[24:25] op_sel:[1,0] op_sel_hi:[0,1]
	v_pk_fma_f32 v[16:17], v[36:37], 0.5, v[16:17] op_sel_hi:[1,0,1] neg_lo:[1,0,0] neg_hi:[1,0,0]
	v_pk_fma_f32 v[32:33], v[38:39], s[14:15], v[32:33] op_sel_hi:[1,0,1] neg_lo:[1,0,0] neg_hi:[1,0,0]
	v_pk_fma_f32 v[44:45], v[54:55], s[6:7], v[44:45] op_sel_hi:[1,0,1]
	v_pk_fma_f32 v[56:57], v[20:21], s[14:15], v[56:57] op_sel_hi:[1,0,1] neg_lo:[1,0,0] neg_hi:[1,0,0]
	v_pk_add_f32 v[82:83], v[82:83], v[54:55] neg_lo:[0,1] neg_hi:[0,1]
	v_pk_fma_f32 v[86:87], v[88:89], 0.5, v[86:87] op_sel_hi:[1,0,1] neg_lo:[1,0,0] neg_hi:[1,0,0]
	v_pk_fma_f32 v[18:19], v[28:29], s[6:7], v[18:19] op_sel_hi:[1,0,1]
	v_pk_fma_f32 v[16:17], v[40:41], s[14:15], v[16:17] op_sel_hi:[1,0,1] neg_lo:[1,0,0] neg_hi:[1,0,0]
	v_pk_add_f32 v[48:49], v[32:33], v[46:47] neg_lo:[0,1] neg_hi:[0,1]
	v_pk_add_f32 v[32:33], v[32:33], v[46:47]
	v_pk_add_f32 v[58:59], v[56:57], v[44:45] neg_lo:[0,1] neg_hi:[0,1]
	v_pk_add_f32 v[56:57], v[56:57], v[44:45]
	v_pk_mul_f32 v[84:85], v[82:83], s[2:3] op_sel_hi:[1,0]
	v_pk_fma_f32 v[88:89], v[82:83], s[2:3], v[86:87] op_sel_hi:[1,0,1] neg_lo:[1,0,0] neg_hi:[1,0,0]
	v_pk_fma_f32 v[82:83], v[82:83], s[2:3], v[86:87] op_sel_hi:[1,0,1]
	v_pk_add_f32 v[20:21], v[16:17], v[18:19] neg_lo:[0,1] neg_hi:[0,1]
	v_pk_add_f32 v[16:17], v[16:17], v[18:19]
	v_pk_fma_f32 v[50:51], v[46:47], 2.0, v[48:49] op_sel_hi:[1,0,1]
	v_pk_fma_f32 v[46:47], v[46:47], 2.0, v[32:33] op_sel_hi:[1,0,1] neg_lo:[1,0,0] neg_hi:[1,0,0]
	v_pk_fma_f32 v[62:63], v[44:45], 2.0, v[58:59] op_sel_hi:[1,0,1]
	v_pk_fma_f32 v[44:45], v[44:45], 2.0, v[56:57] op_sel_hi:[1,0,1] neg_lo:[1,0,0] neg_hi:[1,0,0]
	;; [unrolled: 2-line block ×4, first 2 shown]
	v_lshl_add_u64 v[60:61], v[60:61], 3, v[0:1]
	v_mov_b32_e32 v49, v33
	v_mov_b32_e32 v59, v57
	;; [unrolled: 1-line block ×8, first 2 shown]
	global_store_dwordx2 v[60:61], v[42:43], off
	global_store_dwordx2 v[66:67], v[48:49], off
	;; [unrolled: 1-line block ×9, first 2 shown]
	s_and_b64 exec, exec, s[0:1]
	s_cbranch_execz .LBB0_20
; %bb.24:
	v_add_u32_e32 v50, 0x99, v112
	v_add_u32_e32 v15, 0xffffffbc, v112
	v_cndmask_b32_e64 v15, v15, v50, s[0:1]
	v_lshlrev_b32_e32 v34, 3, v15
	v_lshl_add_u64 v[20:21], v[34:35], 3, s[4:5]
	global_load_dwordx4 v[16:19], v[20:21], off offset:1632
	global_load_dwordx4 v[32:35], v[20:21], off offset:1648
	;; [unrolled: 1-line block ×4, first 2 shown]
	s_mov_b32 s0, s17
	s_waitcnt vmcnt(3)
	v_pk_mul_f32 v[20:21], v[22:23], v[16:17] op_sel_hi:[0,1]
	v_pk_mul_f32 v[24:25], v[26:27], v[18:19] op_sel_hi:[0,1]
	s_waitcnt vmcnt(2)
	v_pk_mul_f32 v[26:27], v[26:27], v[32:33] op_sel:[1,0]
	v_pk_mul_f32 v[28:29], v[8:9], v[34:35] op_sel_hi:[0,1]
	s_waitcnt vmcnt(1)
	v_pk_mul_f32 v[44:45], v[6:7], v[36:37] op_sel_hi:[0,1]
	v_pk_mul_f32 v[6:7], v[6:7], v[38:39] op_sel:[1,0]
	s_waitcnt vmcnt(0)
	v_pk_mul_f32 v[8:9], v[8:9], v[40:41] op_sel:[1,0]
	v_pk_mul_f32 v[30:31], v[30:31], v[42:43] op_sel_hi:[0,1]
	v_mov_b32_e32 v22, v13
	v_pk_fma_f32 v[46:47], v[12:13], v[16:17], v[20:21] op_sel:[0,0,1] op_sel_hi:[1,1,0]
	v_pk_fma_f32 v[12:13], v[12:13], v[16:17], v[20:21] op_sel:[0,0,1] op_sel_hi:[0,1,0] neg_lo:[1,0,0] neg_hi:[1,0,0]
	v_pk_fma_f32 v[16:17], v[10:11], v[18:19], v[24:25] op_sel:[0,0,1] op_sel_hi:[1,1,0]
	v_pk_fma_f32 v[18:19], v[10:11], v[18:19], v[24:25] op_sel:[0,0,1] op_sel_hi:[0,1,0] neg_lo:[1,0,0] neg_hi:[1,0,0]
	;; [unrolled: 2-line block ×8, first 2 shown]
	v_mov_b32_e32 v47, v13
	v_mov_b32_e32 v17, v19
	;; [unrolled: 1-line block ×16, first 2 shown]
	v_pk_add_f32 v[8:9], v[46:47], v[8:9]
	v_pk_add_f32 v[6:7], v[16:17], v[6:7]
	v_pk_add_f32 v[2:3], v[2:3], v[10:11] neg_lo:[0,1] neg_hi:[0,1]
	v_pk_add_f32 v[4:5], v[12:13], v[4:5] neg_lo:[0,1] neg_hi:[0,1]
	;; [unrolled: 1-line block ×3, first 2 shown]
	v_pk_add_f32 v[16:17], v[24:25], v[28:29]
	v_pk_add_f32 v[14:15], v[20:21], v[34:35]
	v_pk_add_f32 v[10:11], v[20:21], v[34:35] neg_lo:[0,1] neg_hi:[0,1]
	v_pk_mul_f32 v[18:19], v[4:5], s[20:21]
	v_pk_fma_f32 v[20:21], v[8:9], s[12:13], v[22:23] op_sel_hi:[1,0,1]
	v_pk_mul_f32 v[26:27], v[12:13], s[18:19] op_sel:[1,0] op_sel_hi:[0,0]
	v_mov_b32_e32 v30, v2
	v_mov_b32_e32 v31, v5
	v_pk_fma_f32 v[32:33], v[16:17], s[12:13], v[22:23] op_sel_hi:[1,0,1]
	v_pk_mul_f32 v[10:11], v[10:11], s[2:3] op_sel_hi:[1,0]
	v_mov_b32_e32 v5, v3
	v_pk_fma_f32 v[2:3], v[2:3], s[16:17], v[18:19]
	v_pk_fma_f32 v[18:19], v[6:7], s[10:11], v[20:21] op_sel_hi:[1,0,1]
	v_pk_fma_f32 v[20:21], v[30:31], s[0:1], v[26:27] op_sel_hi:[1,0,1]
	;; [unrolled: 1-line block ×3, first 2 shown]
	v_pk_add_f32 v[2:3], v[10:11], v[2:3] op_sel:[1,0] op_sel_hi:[0,1]
	v_pk_fma_f32 v[18:19], v[14:15], 0.5, v[18:19] op_sel_hi:[1,0,1] neg_lo:[1,0,0] neg_hi:[1,0,0]
	v_pk_fma_f32 v[26:27], v[14:15], 0.5, v[26:27] op_sel_hi:[1,0,1] neg_lo:[1,0,0] neg_hi:[1,0,0]
	v_pk_add_f32 v[36:37], v[6:7], v[8:9]
	v_pk_add_f32 v[32:33], v[12:13], v[30:31] op_sel:[1,0] op_sel_hi:[0,1]
	v_pk_add_f32 v[20:21], v[20:21], v[10:11] op_sel:[0,1] op_sel_hi:[1,0] neg_lo:[0,1] neg_hi:[0,1]
	v_pk_fma_f32 v[2:3], v[12:13], s[6:7], v[2:3] op_sel:[1,0,0] op_sel_hi:[0,0,1]
	v_pk_fma_f32 v[18:19], v[16:17], s[14:15], v[18:19] op_sel_hi:[1,0,1] neg_lo:[1,0,0] neg_hi:[1,0,0]
	v_pk_fma_f32 v[26:27], v[6:7], s[14:15], v[26:27] op_sel_hi:[1,0,1] neg_lo:[1,0,0] neg_hi:[1,0,0]
	v_pk_mul_f32 v[12:13], v[12:13], s[0:1] op_sel:[1,0] op_sel_hi:[0,0]
	v_pk_fma_f32 v[6:7], v[6:7], s[12:13], v[22:23] op_sel_hi:[1,0,1]
	v_pk_add_f32 v[32:33], v[32:33], v[4:5] neg_lo:[0,1] neg_hi:[0,1]
	v_pk_fma_f32 v[20:21], v[4:5], s[6:7], v[20:21] op_sel_hi:[1,0,1]
	v_pk_add_f32 v[40:41], v[18:19], v[2:3] neg_lo:[0,1] neg_hi:[0,1]
	v_pk_add_f32 v[18:19], v[18:19], v[2:3]
	v_pk_fma_f32 v[4:5], v[4:5], s[18:19], v[12:13] op_sel_hi:[1,0,1] neg_lo:[0,0,1] neg_hi:[0,0,1]
	v_pk_fma_f32 v[6:7], v[16:17], s[10:11], v[6:7] op_sel_hi:[1,0,1]
	v_pk_fma_f32 v[44:45], v[2:3], 2.0, v[40:41] op_sel_hi:[1,0,1]
	v_pk_fma_f32 v[2:3], v[2:3], 2.0, v[18:19] op_sel_hi:[1,0,1] neg_lo:[1,0,0] neg_hi:[1,0,0]
	v_pk_add_f32 v[4:5], v[10:11], v[4:5] op_sel:[1,0] op_sel_hi:[0,1]
	v_pk_fma_f32 v[6:7], v[14:15], 0.5, v[6:7] op_sel_hi:[1,0,1] neg_lo:[1,0,0] neg_hi:[1,0,0]
	v_mad_u64_u32 v[12:13], s[0:1], s8, v50, 0
	v_pk_add_f32 v[38:39], v[16:17], v[36:37]
	v_pk_add_f32 v[36:37], v[14:15], v[36:37]
	v_pk_fma_f32 v[4:5], v[30:31], s[6:7], v[4:5] op_sel_hi:[1,0,1]
	v_pk_fma_f32 v[6:7], v[8:9], s[14:15], v[6:7] op_sel_hi:[1,0,1] neg_lo:[1,0,0] neg_hi:[1,0,0]
	v_mov_b32_e32 v2, v13
	v_pk_add_f32 v[34:35], v[22:23], v[14:15]
	v_pk_add_f32 v[24:25], v[24:25], v[36:37]
	v_pk_add_f32 v[8:9], v[6:7], v[4:5] neg_lo:[0,1] neg_hi:[0,1]
	v_pk_add_f32 v[6:7], v[6:7], v[4:5]
	v_mad_u64_u32 v[14:15], s[0:1], s9, v50, v[2:3]
	v_pk_add_f32 v[24:25], v[28:29], v[24:25]
	v_pk_fma_f32 v[10:11], v[4:5], 2.0, v[8:9] op_sel_hi:[1,0,1]
	v_pk_fma_f32 v[4:5], v[4:5], 2.0, v[6:7] op_sel_hi:[1,0,1] neg_lo:[1,0,0] neg_hi:[1,0,0]
	v_mov_b32_e32 v13, v14
	v_pk_add_f32 v[24:25], v[22:23], v[24:25]
	v_lshl_add_u64 v[12:13], v[12:13], 3, v[0:1]
	v_add_u32_e32 v4, 0x176, v112
	global_store_dwordx2 v[12:13], v[24:25], off
	v_mad_u64_u32 v[12:13], s[0:1], s8, v4, 0
	v_mov_b32_e32 v2, v13
	v_mad_u64_u32 v[14:15], s[0:1], s9, v4, v[2:3]
	v_mov_b32_e32 v13, v14
	v_lshl_add_u64 v[12:13], v[12:13], 3, v[0:1]
	v_mov_b32_e32 v41, v19
	v_add_u32_e32 v4, 0x253, v112
	global_store_dwordx2 v[12:13], v[40:41], off
	v_mad_u64_u32 v[12:13], s[0:1], s8, v4, 0
	v_mov_b32_e32 v2, v13
	v_mad_u64_u32 v[14:15], s[0:1], s9, v4, v[2:3]
	v_pk_add_f32 v[42:43], v[26:27], v[20:21] neg_lo:[0,1] neg_hi:[0,1]
	v_pk_add_f32 v[26:27], v[26:27], v[20:21]
	v_mov_b32_e32 v13, v14
	v_pk_fma_f32 v[46:47], v[20:21], 2.0, v[42:43] op_sel_hi:[1,0,1]
	v_lshl_add_u64 v[12:13], v[12:13], 3, v[0:1]
	v_mov_b32_e32 v43, v27
	v_add_u32_e32 v4, 0x330, v112
	global_store_dwordx2 v[12:13], v[42:43], off
	v_mad_u64_u32 v[12:13], s[0:1], s8, v4, 0
	v_mov_b32_e32 v2, v13
	v_pk_fma_f32 v[34:35], v[38:39], 0.5, v[34:35] op_sel_hi:[1,0,1] neg_lo:[1,0,0] neg_hi:[1,0,0]
	v_mad_u64_u32 v[14:15], s[0:1], s9, v4, v[2:3]
	v_pk_mul_f32 v[38:39], v[32:33], s[2:3] op_sel_hi:[1,0]
	v_pk_fma_f32 v[48:49], v[32:33], s[2:3], v[34:35] op_sel_hi:[1,0,1] neg_lo:[1,0,0] neg_hi:[1,0,0]
	v_pk_fma_f32 v[32:33], v[32:33], s[2:3], v[34:35] op_sel_hi:[1,0,1]
	v_mov_b32_e32 v13, v14
	v_pk_fma_f32 v[34:35], v[38:39], 2.0, v[48:49] op_sel_hi:[1,0,1]
	v_lshl_add_u64 v[12:13], v[12:13], 3, v[0:1]
	v_mov_b32_e32 v49, v33
	v_add_u32_e32 v4, 0x40d, v112
	global_store_dwordx2 v[12:13], v[48:49], off
	v_mad_u64_u32 v[12:13], s[0:1], s8, v4, 0
	v_mov_b32_e32 v2, v13
	v_mad_u64_u32 v[14:15], s[0:1], s9, v4, v[2:3]
	v_add_u32_e32 v4, 0x4ea, v112
	v_mov_b32_e32 v13, v14
	v_mov_b32_e32 v9, v7
	v_mad_u64_u32 v[6:7], s[0:1], s8, v4, 0
	v_lshl_add_u64 v[12:13], v[12:13], 3, v[0:1]
	v_mov_b32_e32 v2, v7
	global_store_dwordx2 v[12:13], v[8:9], off
	v_mad_u64_u32 v[8:9], s[0:1], s9, v4, v[2:3]
	v_mov_b32_e32 v7, v8
	v_lshl_add_u64 v[6:7], v[6:7], 3, v[0:1]
	v_mov_b32_e32 v11, v5
	global_store_dwordx2 v[6:7], v[10:11], off
	v_add_u32_e32 v6, 0x5c7, v112
	v_mad_u64_u32 v[4:5], s[0:1], s8, v6, 0
	v_mov_b32_e32 v2, v5
	v_mad_u64_u32 v[6:7], s[0:1], s9, v6, v[2:3]
	v_pk_fma_f32 v[38:39], v[38:39], 2.0, v[32:33] op_sel_hi:[1,0,1] neg_lo:[1,0,0] neg_hi:[1,0,0]
	v_mov_b32_e32 v5, v6
	v_lshl_add_u64 v[4:5], v[4:5], 3, v[0:1]
	v_mov_b32_e32 v35, v39
	v_add_u32_e32 v6, 0x6a4, v112
	global_store_dwordx2 v[4:5], v[34:35], off
	v_mad_u64_u32 v[4:5], s[0:1], s8, v6, 0
	v_mov_b32_e32 v2, v5
	v_mad_u64_u32 v[6:7], s[0:1], s9, v6, v[2:3]
	v_pk_fma_f32 v[20:21], v[20:21], 2.0, v[26:27] op_sel_hi:[1,0,1] neg_lo:[1,0,0] neg_hi:[1,0,0]
	v_mov_b32_e32 v5, v6
	v_lshl_add_u64 v[4:5], v[4:5], 3, v[0:1]
	v_mov_b32_e32 v47, v21
	v_add_u32_e32 v6, 0x781, v112
	global_store_dwordx2 v[4:5], v[46:47], off
	v_mad_u64_u32 v[4:5], s[0:1], s8, v6, 0
	v_mov_b32_e32 v2, v5
	v_mad_u64_u32 v[6:7], s[0:1], s9, v6, v[2:3]
	v_mov_b32_e32 v5, v6
	v_lshl_add_u64 v[0:1], v[4:5], 3, v[0:1]
	v_mov_b32_e32 v45, v3
	global_store_dwordx2 v[0:1], v[44:45], off
	s_endpgm
	.section	.rodata,"a",@progbits
	.p2align	6, 0x0
	.amdhsa_kernel fft_rtc_back_len1989_factors_17_13_9_wgs_153_tpt_153_halfLds_sp_ip_CI_sbrr_dirReg
		.amdhsa_group_segment_fixed_size 0
		.amdhsa_private_segment_fixed_size 0
		.amdhsa_kernarg_size 88
		.amdhsa_user_sgpr_count 2
		.amdhsa_user_sgpr_dispatch_ptr 0
		.amdhsa_user_sgpr_queue_ptr 0
		.amdhsa_user_sgpr_kernarg_segment_ptr 1
		.amdhsa_user_sgpr_dispatch_id 0
		.amdhsa_user_sgpr_kernarg_preload_length 0
		.amdhsa_user_sgpr_kernarg_preload_offset 0
		.amdhsa_user_sgpr_private_segment_size 0
		.amdhsa_uses_dynamic_stack 0
		.amdhsa_enable_private_segment 0
		.amdhsa_system_sgpr_workgroup_id_x 1
		.amdhsa_system_sgpr_workgroup_id_y 0
		.amdhsa_system_sgpr_workgroup_id_z 0
		.amdhsa_system_sgpr_workgroup_info 0
		.amdhsa_system_vgpr_workitem_id 0
		.amdhsa_next_free_vgpr 140
		.amdhsa_next_free_sgpr 82
		.amdhsa_accum_offset 140
		.amdhsa_reserve_vcc 1
		.amdhsa_float_round_mode_32 0
		.amdhsa_float_round_mode_16_64 0
		.amdhsa_float_denorm_mode_32 3
		.amdhsa_float_denorm_mode_16_64 3
		.amdhsa_dx10_clamp 1
		.amdhsa_ieee_mode 1
		.amdhsa_fp16_overflow 0
		.amdhsa_tg_split 0
		.amdhsa_exception_fp_ieee_invalid_op 0
		.amdhsa_exception_fp_denorm_src 0
		.amdhsa_exception_fp_ieee_div_zero 0
		.amdhsa_exception_fp_ieee_overflow 0
		.amdhsa_exception_fp_ieee_underflow 0
		.amdhsa_exception_fp_ieee_inexact 0
		.amdhsa_exception_int_div_zero 0
	.end_amdhsa_kernel
	.text
.Lfunc_end0:
	.size	fft_rtc_back_len1989_factors_17_13_9_wgs_153_tpt_153_halfLds_sp_ip_CI_sbrr_dirReg, .Lfunc_end0-fft_rtc_back_len1989_factors_17_13_9_wgs_153_tpt_153_halfLds_sp_ip_CI_sbrr_dirReg
                                        ; -- End function
	.section	.AMDGPU.csdata,"",@progbits
; Kernel info:
; codeLenInByte = 13772
; NumSgprs: 88
; NumVgprs: 140
; NumAgprs: 0
; TotalNumVgprs: 140
; ScratchSize: 0
; MemoryBound: 0
; FloatMode: 240
; IeeeMode: 1
; LDSByteSize: 0 bytes/workgroup (compile time only)
; SGPRBlocks: 10
; VGPRBlocks: 17
; NumSGPRsForWavesPerEU: 88
; NumVGPRsForWavesPerEU: 140
; AccumOffset: 140
; Occupancy: 3
; WaveLimiterHint : 1
; COMPUTE_PGM_RSRC2:SCRATCH_EN: 0
; COMPUTE_PGM_RSRC2:USER_SGPR: 2
; COMPUTE_PGM_RSRC2:TRAP_HANDLER: 0
; COMPUTE_PGM_RSRC2:TGID_X_EN: 1
; COMPUTE_PGM_RSRC2:TGID_Y_EN: 0
; COMPUTE_PGM_RSRC2:TGID_Z_EN: 0
; COMPUTE_PGM_RSRC2:TIDIG_COMP_CNT: 0
; COMPUTE_PGM_RSRC3_GFX90A:ACCUM_OFFSET: 34
; COMPUTE_PGM_RSRC3_GFX90A:TG_SPLIT: 0
	.text
	.p2alignl 6, 3212836864
	.fill 256, 4, 3212836864
	.type	__hip_cuid_b49ff4e786ddbd62,@object ; @__hip_cuid_b49ff4e786ddbd62
	.section	.bss,"aw",@nobits
	.globl	__hip_cuid_b49ff4e786ddbd62
__hip_cuid_b49ff4e786ddbd62:
	.byte	0                               ; 0x0
	.size	__hip_cuid_b49ff4e786ddbd62, 1

	.ident	"AMD clang version 19.0.0git (https://github.com/RadeonOpenCompute/llvm-project roc-6.4.0 25133 c7fe45cf4b819c5991fe208aaa96edf142730f1d)"
	.section	".note.GNU-stack","",@progbits
	.addrsig
	.addrsig_sym __hip_cuid_b49ff4e786ddbd62
	.amdgpu_metadata
---
amdhsa.kernels:
  - .agpr_count:     0
    .args:
      - .actual_access:  read_only
        .address_space:  global
        .offset:         0
        .size:           8
        .value_kind:     global_buffer
      - .offset:         8
        .size:           8
        .value_kind:     by_value
      - .actual_access:  read_only
        .address_space:  global
        .offset:         16
        .size:           8
        .value_kind:     global_buffer
      - .actual_access:  read_only
        .address_space:  global
        .offset:         24
        .size:           8
        .value_kind:     global_buffer
      - .offset:         32
        .size:           8
        .value_kind:     by_value
      - .actual_access:  read_only
        .address_space:  global
        .offset:         40
        .size:           8
        .value_kind:     global_buffer
      - .actual_access:  read_only
        .address_space:  global
        .offset:         48
        .size:           8
        .value_kind:     global_buffer
      - .offset:         56
        .size:           4
        .value_kind:     by_value
      - .actual_access:  read_only
        .address_space:  global
        .offset:         64
        .size:           8
        .value_kind:     global_buffer
      - .actual_access:  read_only
        .address_space:  global
        .offset:         72
        .size:           8
        .value_kind:     global_buffer
      - .address_space:  global
        .offset:         80
        .size:           8
        .value_kind:     global_buffer
    .group_segment_fixed_size: 0
    .kernarg_segment_align: 8
    .kernarg_segment_size: 88
    .language:       OpenCL C
    .language_version:
      - 2
      - 0
    .max_flat_workgroup_size: 153
    .name:           fft_rtc_back_len1989_factors_17_13_9_wgs_153_tpt_153_halfLds_sp_ip_CI_sbrr_dirReg
    .private_segment_fixed_size: 0
    .sgpr_count:     88
    .sgpr_spill_count: 0
    .symbol:         fft_rtc_back_len1989_factors_17_13_9_wgs_153_tpt_153_halfLds_sp_ip_CI_sbrr_dirReg.kd
    .uniform_work_group_size: 1
    .uses_dynamic_stack: false
    .vgpr_count:     140
    .vgpr_spill_count: 0
    .wavefront_size: 64
amdhsa.target:   amdgcn-amd-amdhsa--gfx950
amdhsa.version:
  - 1
  - 2
...

	.end_amdgpu_metadata
